;; amdgpu-corpus repo=ROCm/rocFFT kind=compiled arch=gfx906 opt=O3
	.text
	.amdgcn_target "amdgcn-amd-amdhsa--gfx906"
	.amdhsa_code_object_version 6
	.protected	fft_rtc_back_len1960_factors_4_7_2_7_5_wgs_56_tpt_56_halfLds_dp_op_CI_CI_unitstride_sbrr_R2C_dirReg ; -- Begin function fft_rtc_back_len1960_factors_4_7_2_7_5_wgs_56_tpt_56_halfLds_dp_op_CI_CI_unitstride_sbrr_R2C_dirReg
	.globl	fft_rtc_back_len1960_factors_4_7_2_7_5_wgs_56_tpt_56_halfLds_dp_op_CI_CI_unitstride_sbrr_R2C_dirReg
	.p2align	8
	.type	fft_rtc_back_len1960_factors_4_7_2_7_5_wgs_56_tpt_56_halfLds_dp_op_CI_CI_unitstride_sbrr_R2C_dirReg,@function
fft_rtc_back_len1960_factors_4_7_2_7_5_wgs_56_tpt_56_halfLds_dp_op_CI_CI_unitstride_sbrr_R2C_dirReg: ; @fft_rtc_back_len1960_factors_4_7_2_7_5_wgs_56_tpt_56_halfLds_dp_op_CI_CI_unitstride_sbrr_R2C_dirReg
; %bb.0:
	s_load_dwordx4 s[8:11], s[4:5], 0x58
	s_load_dwordx4 s[12:15], s[4:5], 0x0
	;; [unrolled: 1-line block ×3, first 2 shown]
	v_mul_u32_u24_e32 v1, 0x493, v0
	v_add_u32_sdwa v5, s6, v1 dst_sel:DWORD dst_unused:UNUSED_PAD src0_sel:DWORD src1_sel:WORD_1
	v_mov_b32_e32 v3, 0
	s_waitcnt lgkmcnt(0)
	v_cmp_lt_u64_e64 s[0:1], s[14:15], 2
	v_mov_b32_e32 v1, 0
	v_mov_b32_e32 v6, v3
	s_and_b64 vcc, exec, s[0:1]
	v_mov_b32_e32 v2, 0
	s_cbranch_vccnz .LBB0_8
; %bb.1:
	s_load_dwordx2 s[0:1], s[4:5], 0x10
	s_add_u32 s2, s18, 8
	s_addc_u32 s3, s19, 0
	s_add_u32 s6, s16, 8
	v_mov_b32_e32 v1, 0
	s_addc_u32 s7, s17, 0
	v_mov_b32_e32 v2, 0
	s_waitcnt lgkmcnt(0)
	s_add_u32 s20, s0, 8
	v_mov_b32_e32 v147, v2
	s_addc_u32 s21, s1, 0
	s_mov_b64 s[22:23], 1
	v_mov_b32_e32 v146, v1
.LBB0_2:                                ; =>This Inner Loop Header: Depth=1
	s_load_dwordx2 s[24:25], s[20:21], 0x0
                                        ; implicit-def: $vgpr148_vgpr149
	s_waitcnt lgkmcnt(0)
	v_or_b32_e32 v4, s25, v6
	v_cmp_ne_u64_e32 vcc, 0, v[3:4]
	s_and_saveexec_b64 s[0:1], vcc
	s_xor_b64 s[26:27], exec, s[0:1]
	s_cbranch_execz .LBB0_4
; %bb.3:                                ;   in Loop: Header=BB0_2 Depth=1
	v_cvt_f32_u32_e32 v4, s24
	v_cvt_f32_u32_e32 v7, s25
	s_sub_u32 s0, 0, s24
	s_subb_u32 s1, 0, s25
	v_mac_f32_e32 v4, 0x4f800000, v7
	v_rcp_f32_e32 v4, v4
	v_mul_f32_e32 v4, 0x5f7ffffc, v4
	v_mul_f32_e32 v7, 0x2f800000, v4
	v_trunc_f32_e32 v7, v7
	v_mac_f32_e32 v4, 0xcf800000, v7
	v_cvt_u32_f32_e32 v7, v7
	v_cvt_u32_f32_e32 v4, v4
	v_mul_lo_u32 v8, s0, v7
	v_mul_hi_u32 v9, s0, v4
	v_mul_lo_u32 v11, s1, v4
	v_mul_lo_u32 v10, s0, v4
	v_add_u32_e32 v8, v9, v8
	v_add_u32_e32 v8, v8, v11
	v_mul_hi_u32 v9, v4, v10
	v_mul_lo_u32 v11, v4, v8
	v_mul_hi_u32 v13, v4, v8
	v_mul_hi_u32 v12, v7, v10
	v_mul_lo_u32 v10, v7, v10
	v_mul_hi_u32 v14, v7, v8
	v_add_co_u32_e32 v9, vcc, v9, v11
	v_addc_co_u32_e32 v11, vcc, 0, v13, vcc
	v_mul_lo_u32 v8, v7, v8
	v_add_co_u32_e32 v9, vcc, v9, v10
	v_addc_co_u32_e32 v9, vcc, v11, v12, vcc
	v_addc_co_u32_e32 v10, vcc, 0, v14, vcc
	v_add_co_u32_e32 v8, vcc, v9, v8
	v_addc_co_u32_e32 v9, vcc, 0, v10, vcc
	v_add_co_u32_e32 v4, vcc, v4, v8
	v_addc_co_u32_e32 v7, vcc, v7, v9, vcc
	v_mul_lo_u32 v8, s0, v7
	v_mul_hi_u32 v9, s0, v4
	v_mul_lo_u32 v10, s1, v4
	v_mul_lo_u32 v11, s0, v4
	v_add_u32_e32 v8, v9, v8
	v_add_u32_e32 v8, v8, v10
	v_mul_lo_u32 v12, v4, v8
	v_mul_hi_u32 v13, v4, v11
	v_mul_hi_u32 v14, v4, v8
	v_mul_hi_u32 v10, v7, v11
	v_mul_lo_u32 v11, v7, v11
	v_mul_hi_u32 v9, v7, v8
	v_add_co_u32_e32 v12, vcc, v13, v12
	v_addc_co_u32_e32 v13, vcc, 0, v14, vcc
	v_mul_lo_u32 v8, v7, v8
	v_add_co_u32_e32 v11, vcc, v12, v11
	v_addc_co_u32_e32 v10, vcc, v13, v10, vcc
	v_addc_co_u32_e32 v9, vcc, 0, v9, vcc
	v_add_co_u32_e32 v8, vcc, v10, v8
	v_addc_co_u32_e32 v9, vcc, 0, v9, vcc
	v_add_co_u32_e32 v4, vcc, v4, v8
	v_addc_co_u32_e32 v9, vcc, v7, v9, vcc
	v_mad_u64_u32 v[7:8], s[0:1], v5, v9, 0
	v_mul_hi_u32 v10, v5, v4
	v_add_co_u32_e32 v11, vcc, v10, v7
	v_addc_co_u32_e32 v12, vcc, 0, v8, vcc
	v_mad_u64_u32 v[7:8], s[0:1], v6, v4, 0
	v_mad_u64_u32 v[9:10], s[0:1], v6, v9, 0
	v_add_co_u32_e32 v4, vcc, v11, v7
	v_addc_co_u32_e32 v4, vcc, v12, v8, vcc
	v_addc_co_u32_e32 v7, vcc, 0, v10, vcc
	v_add_co_u32_e32 v4, vcc, v4, v9
	v_addc_co_u32_e32 v9, vcc, 0, v7, vcc
	v_mul_lo_u32 v10, s25, v4
	v_mul_lo_u32 v11, s24, v9
	v_mad_u64_u32 v[7:8], s[0:1], s24, v4, 0
	v_add3_u32 v8, v8, v11, v10
	v_sub_u32_e32 v10, v6, v8
	v_mov_b32_e32 v11, s25
	v_sub_co_u32_e32 v7, vcc, v5, v7
	v_subb_co_u32_e64 v10, s[0:1], v10, v11, vcc
	v_subrev_co_u32_e64 v11, s[0:1], s24, v7
	v_subbrev_co_u32_e64 v10, s[0:1], 0, v10, s[0:1]
	v_cmp_le_u32_e64 s[0:1], s25, v10
	v_cndmask_b32_e64 v12, 0, -1, s[0:1]
	v_cmp_le_u32_e64 s[0:1], s24, v11
	v_cndmask_b32_e64 v11, 0, -1, s[0:1]
	v_cmp_eq_u32_e64 s[0:1], s25, v10
	v_cndmask_b32_e64 v10, v12, v11, s[0:1]
	v_add_co_u32_e64 v11, s[0:1], 2, v4
	v_addc_co_u32_e64 v12, s[0:1], 0, v9, s[0:1]
	v_add_co_u32_e64 v13, s[0:1], 1, v4
	v_addc_co_u32_e64 v14, s[0:1], 0, v9, s[0:1]
	v_subb_co_u32_e32 v8, vcc, v6, v8, vcc
	v_cmp_ne_u32_e64 s[0:1], 0, v10
	v_cmp_le_u32_e32 vcc, s25, v8
	v_cndmask_b32_e64 v10, v14, v12, s[0:1]
	v_cndmask_b32_e64 v12, 0, -1, vcc
	v_cmp_le_u32_e32 vcc, s24, v7
	v_cndmask_b32_e64 v7, 0, -1, vcc
	v_cmp_eq_u32_e32 vcc, s25, v8
	v_cndmask_b32_e32 v7, v12, v7, vcc
	v_cmp_ne_u32_e32 vcc, 0, v7
	v_cndmask_b32_e64 v7, v13, v11, s[0:1]
	v_cndmask_b32_e32 v149, v9, v10, vcc
	v_cndmask_b32_e32 v148, v4, v7, vcc
.LBB0_4:                                ;   in Loop: Header=BB0_2 Depth=1
	s_andn2_saveexec_b64 s[0:1], s[26:27]
	s_cbranch_execz .LBB0_6
; %bb.5:                                ;   in Loop: Header=BB0_2 Depth=1
	v_cvt_f32_u32_e32 v4, s24
	s_sub_i32 s26, 0, s24
	v_mov_b32_e32 v149, v3
	v_rcp_iflag_f32_e32 v4, v4
	v_mul_f32_e32 v4, 0x4f7ffffe, v4
	v_cvt_u32_f32_e32 v4, v4
	v_mul_lo_u32 v7, s26, v4
	v_mul_hi_u32 v7, v4, v7
	v_add_u32_e32 v4, v4, v7
	v_mul_hi_u32 v4, v5, v4
	v_mul_lo_u32 v7, v4, s24
	v_add_u32_e32 v8, 1, v4
	v_sub_u32_e32 v7, v5, v7
	v_subrev_u32_e32 v9, s24, v7
	v_cmp_le_u32_e32 vcc, s24, v7
	v_cndmask_b32_e32 v7, v7, v9, vcc
	v_cndmask_b32_e32 v4, v4, v8, vcc
	v_add_u32_e32 v8, 1, v4
	v_cmp_le_u32_e32 vcc, s24, v7
	v_cndmask_b32_e32 v148, v4, v8, vcc
.LBB0_6:                                ;   in Loop: Header=BB0_2 Depth=1
	s_or_b64 exec, exec, s[0:1]
	v_mul_lo_u32 v4, v149, s24
	v_mul_lo_u32 v9, v148, s25
	v_mad_u64_u32 v[7:8], s[0:1], v148, s24, 0
	s_load_dwordx2 s[0:1], s[6:7], 0x0
	s_load_dwordx2 s[24:25], s[2:3], 0x0
	v_add3_u32 v4, v8, v9, v4
	v_sub_co_u32_e32 v5, vcc, v5, v7
	v_subb_co_u32_e32 v4, vcc, v6, v4, vcc
	s_waitcnt lgkmcnt(0)
	v_mul_lo_u32 v6, s0, v4
	v_mul_lo_u32 v7, s1, v5
	v_mad_u64_u32 v[1:2], s[0:1], s0, v5, v[1:2]
	v_mul_lo_u32 v4, s24, v4
	v_mul_lo_u32 v8, s25, v5
	v_mad_u64_u32 v[146:147], s[0:1], s24, v5, v[146:147]
	s_add_u32 s22, s22, 1
	s_addc_u32 s23, s23, 0
	s_add_u32 s2, s2, 8
	v_add3_u32 v147, v8, v147, v4
	s_addc_u32 s3, s3, 0
	v_mov_b32_e32 v4, s14
	s_add_u32 s6, s6, 8
	v_mov_b32_e32 v5, s15
	s_addc_u32 s7, s7, 0
	v_cmp_ge_u64_e32 vcc, s[22:23], v[4:5]
	s_add_u32 s20, s20, 8
	v_add3_u32 v2, v7, v2, v6
	s_addc_u32 s21, s21, 0
	s_cbranch_vccnz .LBB0_9
; %bb.7:                                ;   in Loop: Header=BB0_2 Depth=1
	v_mov_b32_e32 v5, v148
	v_mov_b32_e32 v6, v149
	s_branch .LBB0_2
.LBB0_8:
	v_mov_b32_e32 v147, v2
	v_mov_b32_e32 v149, v6
	;; [unrolled: 1-line block ×4, first 2 shown]
.LBB0_9:
	s_load_dwordx2 s[4:5], s[4:5], 0x28
	s_lshl_b64 s[6:7], s[14:15], 3
	s_add_u32 s2, s18, s6
	s_addc_u32 s3, s19, s7
                                        ; implicit-def: $vgpr144
                                        ; implicit-def: $vgpr150
                                        ; implicit-def: $vgpr158
                                        ; implicit-def: $vgpr157
                                        ; implicit-def: $vgpr156
                                        ; implicit-def: $vgpr155
                                        ; implicit-def: $vgpr154
                                        ; implicit-def: $vgpr153
                                        ; implicit-def: $vgpr152
	s_waitcnt lgkmcnt(0)
	v_cmp_gt_u64_e64 s[0:1], s[4:5], v[148:149]
	v_cmp_le_u64_e32 vcc, s[4:5], v[148:149]
	s_and_saveexec_b64 s[4:5], vcc
	s_xor_b64 s[4:5], exec, s[4:5]
	s_cbranch_execz .LBB0_11
; %bb.10:
	s_mov_b32 s14, 0x4924925
	v_mul_hi_u32 v1, v0, s14
	v_mul_u32_u24_e32 v1, 56, v1
	v_sub_u32_e32 v144, v0, v1
	v_add_u32_e32 v150, 56, v144
	v_add_u32_e32 v158, 0x70, v144
	;; [unrolled: 1-line block ×7, first 2 shown]
	v_or_b32_e32 v152, 0x1c0, v144
                                        ; implicit-def: $vgpr0
                                        ; implicit-def: $vgpr1_vgpr2
.LBB0_11:
	s_andn2_saveexec_b64 s[4:5], s[4:5]
	s_cbranch_execz .LBB0_13
; %bb.12:
	s_add_u32 s6, s16, s6
	s_addc_u32 s7, s17, s7
	s_load_dwordx2 s[6:7], s[6:7], 0x0
	s_mov_b32 s14, 0x4924925
	v_mul_hi_u32 v5, v0, s14
	s_waitcnt lgkmcnt(0)
	v_mul_lo_u32 v6, s7, v148
	v_mul_lo_u32 v7, s6, v149
	v_mad_u64_u32 v[3:4], s[6:7], s6, v148, 0
	v_mul_u32_u24_e32 v5, 56, v5
	v_sub_u32_e32 v144, v0, v5
	v_add3_u32 v4, v4, v7, v6
	v_lshlrev_b64 v[3:4], 4, v[3:4]
	v_mov_b32_e32 v0, s9
	v_add_co_u32_e32 v3, vcc, s8, v3
	v_addc_co_u32_e32 v4, vcc, v0, v4, vcc
	v_lshlrev_b64 v[0:1], 4, v[1:2]
	v_lshlrev_b32_e32 v140, 4, v144
	v_add_co_u32_e32 v128, vcc, v3, v0
	v_addc_co_u32_e32 v129, vcc, v4, v1, vcc
	v_add_co_u32_e32 v132, vcc, v128, v140
	v_addc_co_u32_e32 v133, vcc, 0, v129, vcc
	s_movk_i32 s6, 0x1000
	v_add_co_u32_e32 v48, vcc, s6, v132
	v_or_b32_e32 v152, 0x1c0, v144
	v_addc_co_u32_e32 v49, vcc, 0, v133, vcc
	v_lshlrev_b32_e32 v24, 4, v152
	v_add_co_u32_e32 v32, vcc, v128, v24
	v_addc_co_u32_e32 v33, vcc, 0, v129, vcc
	global_load_dwordx4 v[0:3], v[132:133], off
	global_load_dwordx4 v[4:7], v[132:133], off offset:896
	global_load_dwordx4 v[8:11], v[132:133], off offset:1792
	;; [unrolled: 1-line block ×5, first 2 shown]
	global_load_dwordx4 v[24:27], v[32:33], off
	global_load_dwordx4 v[28:31], v[48:49], off offset:3968
	v_or_b32_e32 v32, 0x3800, v140
	v_add_co_u32_e32 v50, vcc, v128, v32
	s_movk_i32 s6, 0x4000
	v_addc_co_u32_e32 v51, vcc, 0, v129, vcc
	v_add_co_u32_e32 v96, vcc, s6, v132
	v_addc_co_u32_e32 v97, vcc, 0, v133, vcc
	s_movk_i32 s6, 0x2000
	v_add_co_u32_e32 v64, vcc, s6, v132
	v_addc_co_u32_e32 v65, vcc, 0, v133, vcc
	s_movk_i32 s6, 0x3000
	;; [unrolled: 3-line block ×3, first 2 shown]
	v_add_co_u32_e32 v112, vcc, s6, v132
	global_load_dwordx4 v[32:35], v[50:51], off
	global_load_dwordx4 v[36:39], v[96:97], off offset:640
	global_load_dwordx4 v[40:43], v[48:49], off offset:1280
	;; [unrolled: 1-line block ×3, first 2 shown]
	s_nop 0
	global_load_dwordx4 v[48:51], v[64:65], off offset:768
	global_load_dwordx4 v[52:55], v[64:65], off offset:1664
	;; [unrolled: 1-line block ×4, first 2 shown]
	s_nop 0
	global_load_dwordx4 v[64:67], v[88:89], off offset:256
	global_load_dwordx4 v[68:71], v[88:89], off offset:1152
	;; [unrolled: 1-line block ×6, first 2 shown]
	v_addc_co_u32_e32 v113, vcc, 0, v133, vcc
	global_load_dwordx4 v[88:91], v[96:97], off offset:3328
	global_load_dwordx4 v[92:95], v[112:113], off offset:128
	v_or_b32_e32 v96, 0x5400, v140
	v_add_co_u32_e32 v114, vcc, v128, v96
	v_addc_co_u32_e32 v115, vcc, 0, v129, vcc
	s_movk_i32 s6, 0x6000
	v_add_co_u32_e32 v124, vcc, s6, v132
	v_addc_co_u32_e32 v125, vcc, 0, v133, vcc
	v_or_b32_e32 v130, 0x7000, v140
	v_add_co_u32_e32 v128, vcc, v128, v130
	v_addc_co_u32_e32 v129, vcc, 0, v129, vcc
	v_add_co_u32_e32 v136, vcc, 0x7000, v132
	v_addc_co_u32_e32 v137, vcc, 0, v133, vcc
	global_load_dwordx4 v[96:99], v[114:115], off
	global_load_dwordx4 v[100:103], v[112:113], off offset:3712
	global_load_dwordx4 v[104:107], v[112:113], off offset:1920
	;; [unrolled: 1-line block ×3, first 2 shown]
	s_nop 0
	global_load_dwordx4 v[112:115], v[124:125], off offset:512
	global_load_dwordx4 v[116:119], v[124:125], off offset:1408
	;; [unrolled: 1-line block ×3, first 2 shown]
	s_nop 0
	global_load_dwordx4 v[124:127], v[124:125], off offset:3200
	v_add_u32_e32 v140, 0, v140
	global_load_dwordx4 v[128:131], v[128:129], off
	s_nop 0
	global_load_dwordx4 v[132:135], v[136:137], off offset:896
	s_nop 0
	global_load_dwordx4 v[136:139], v[136:137], off offset:1792
	v_add_u32_e32 v150, 56, v144
	v_add_u32_e32 v158, 0x70, v144
	v_add_u32_e32 v157, 0xa8, v144
	v_add_u32_e32 v156, 0xe0, v144
	v_add_u32_e32 v155, 0x118, v144
	v_add_u32_e32 v154, 0x150, v144
	v_add_u32_e32 v153, 0x188, v144
	s_waitcnt vmcnt(34)
	ds_write_b128 v140, v[0:3]
	s_waitcnt vmcnt(33)
	ds_write_b128 v140, v[4:7] offset:896
	s_waitcnt vmcnt(32)
	ds_write_b128 v140, v[8:11] offset:1792
	;; [unrolled: 2-line block ×6, first 2 shown]
	ds_write_b128 v140, v[20:23] offset:4480
	s_waitcnt vmcnt(24)
	ds_write_b128 v140, v[40:43] offset:5376
	s_waitcnt vmcnt(23)
	ds_write_b128 v140, v[44:47] offset:6272
	ds_write_b128 v140, v[28:31] offset:8064
	s_waitcnt vmcnt(22)
	ds_write_b128 v140, v[48:51] offset:8960
	s_waitcnt vmcnt(21)
	;; [unrolled: 2-line block ×8, first 2 shown]
	ds_write_b128 v140, v[76:79] offset:16128
	ds_write_b128 v140, v[36:39] offset:17024
	s_waitcnt vmcnt(14)
	ds_write_b128 v140, v[80:83] offset:17920
	s_waitcnt vmcnt(13)
	;; [unrolled: 2-line block ×7, first 2 shown]
	ds_write_b128 v140, v[108:111] offset:23296
	ds_write_b128 v140, v[100:103] offset:24192
	s_waitcnt vmcnt(6)
	ds_write_b128 v140, v[112:115] offset:25088
	s_waitcnt vmcnt(5)
	;; [unrolled: 2-line block ×7, first 2 shown]
	ds_write_b128 v140, v[136:139] offset:30464
.LBB0_13:
	s_or_b64 exec, exec, s[4:5]
	v_lshl_add_u32 v226, v144, 4, 0
	s_load_dwordx2 s[4:5], s[2:3], 0x0
	s_waitcnt lgkmcnt(0)
	; wave barrier
	s_waitcnt lgkmcnt(0)
	ds_read_b128 v[0:3], v226 offset:15680
	ds_read_b128 v[8:11], v226
	ds_read_b128 v[12:15], v226 offset:23520
	ds_read_b128 v[40:43], v226 offset:896
	;; [unrolled: 1-line block ×4, first 2 shown]
	s_waitcnt lgkmcnt(4)
	v_add_f64 v[132:133], v[8:9], -v[0:1]
	v_add_f64 v[134:135], v[10:11], -v[2:3]
	ds_read_b128 v[4:7], v226 offset:7168
	ds_read_b128 v[0:3], v226 offset:22848
	ds_read_b128 v[52:55], v226 offset:8736
	ds_read_b128 v[56:59], v226 offset:9632
	ds_read_b128 v[60:63], v226 offset:24416
	ds_read_b128 v[64:67], v226 offset:25312
	ds_read_b128 v[68:71], v226 offset:1792
	ds_read_b128 v[72:75], v226 offset:2688
	s_waitcnt lgkmcnt(8)
	v_add_f64 v[130:131], v[16:17], -v[12:13]
	v_add_f64 v[128:129], v[18:19], -v[14:15]
	;; [unrolled: 1-line block ×4, first 2 shown]
	v_fma_f64 v[8:9], v[8:9], 2.0, -v[132:133]
	v_fma_f64 v[10:11], v[10:11], 2.0, -v[134:135]
	s_waitcnt lgkmcnt(3)
	v_add_f64 v[140:141], v[52:53], -v[60:61]
	v_add_f64 v[142:143], v[54:55], -v[62:63]
	v_fma_f64 v[12:13], v[16:17], 2.0, -v[130:131]
	v_fma_f64 v[14:15], v[18:19], 2.0, -v[128:129]
	v_add_f64 v[128:129], v[132:133], v[128:129]
	v_add_f64 v[130:131], v[134:135], -v[130:131]
	v_fma_f64 v[159:160], v[40:41], 2.0, -v[136:137]
	v_fma_f64 v[161:162], v[42:43], 2.0, -v[138:139]
	;; [unrolled: 1-line block ×4, first 2 shown]
	v_add_f64 v[48:49], v[8:9], -v[12:13]
	v_add_f64 v[50:51], v[10:11], -v[14:15]
	v_fma_f64 v[40:41], v[132:133], 2.0, -v[128:129]
	v_fma_f64 v[42:43], v[134:135], 2.0, -v[130:131]
	s_waitcnt lgkmcnt(2)
	v_add_f64 v[132:133], v[56:57], -v[64:65]
	v_add_f64 v[134:135], v[58:59], -v[66:67]
	;; [unrolled: 1-line block ×4, first 2 shown]
	v_fma_f64 v[76:77], v[8:9], 2.0, -v[48:49]
	v_fma_f64 v[78:79], v[10:11], 2.0, -v[50:51]
	ds_read_b128 v[80:83], v226 offset:17472
	ds_read_b128 v[84:87], v226 offset:18368
	;; [unrolled: 1-line block ×20, first 2 shown]
	s_waitcnt lgkmcnt(14)
	v_add_f64 v[80:81], v[68:69], -v[80:81]
	v_add_f64 v[82:83], v[70:71], -v[82:83]
	v_add_f64 v[64:65], v[136:137], v[142:143]
	v_add_f64 v[66:67], v[138:139], -v[140:141]
	v_lshl_add_u32 v145, v144, 6, 0
	ds_read_b128 v[44:47], v226 offset:29792
	ds_read_b128 v[60:63], v226 offset:30688
	s_waitcnt lgkmcnt(0)
	; wave barrier
	s_waitcnt lgkmcnt(0)
	ds_write_b128 v145, v[76:79]
	v_fma_f64 v[76:77], v[159:160], 2.0, -v[52:53]
	v_fma_f64 v[78:79], v[161:162], 2.0, -v[54:55]
	;; [unrolled: 1-line block ×8, first 2 shown]
	ds_write_b128 v145, v[40:43] offset:16
	ds_write_b128 v145, v[48:51] offset:32
	;; [unrolled: 1-line block ×3, first 2 shown]
	v_lshl_add_u32 v128, v150, 6, 0
	ds_write_b128 v128, v[76:79]
	ds_write_b128 v128, v[56:59] offset:16
	v_add_f64 v[40:41], v[68:69], -v[140:141]
	v_add_f64 v[42:43], v[70:71], -v[142:143]
	;; [unrolled: 1-line block ×6, first 2 shown]
	v_add_f64 v[56:57], v[80:81], v[134:135]
	v_add_f64 v[58:59], v[82:83], -v[132:133]
	v_fma_f64 v[48:49], v[68:69], 2.0, -v[40:41]
	v_fma_f64 v[50:51], v[70:71], 2.0, -v[42:43]
	;; [unrolled: 1-line block ×6, first 2 shown]
	v_lshl_add_u32 v96, v158, 6, 0
	ds_write_b128 v128, v[52:55] offset:32
	ds_write_b128 v128, v[64:67] offset:48
	v_add_f64 v[88:89], v[92:93], -v[100:101]
	ds_write_b128 v96, v[48:51]
	v_fma_f64 v[48:49], v[80:81], 2.0, -v[56:57]
	v_fma_f64 v[50:51], v[82:83], 2.0, -v[58:59]
	v_add_f64 v[52:53], v[68:69], -v[72:73]
	v_add_f64 v[54:55], v[70:71], -v[74:75]
	;; [unrolled: 1-line block ×5, first 2 shown]
	v_add_f64 v[64:65], v[76:77], v[86:87]
	v_add_f64 v[66:67], v[78:79], -v[84:85]
	v_fma_f64 v[92:93], v[92:93], 2.0, -v[88:89]
	v_fma_f64 v[68:69], v[68:69], 2.0, -v[52:53]
	;; [unrolled: 1-line block ×8, first 2 shown]
	ds_write_b128 v96, v[48:51] offset:16
	ds_write_b128 v96, v[40:43] offset:32
	;; [unrolled: 1-line block ×3, first 2 shown]
	v_lshl_add_u32 v96, v157, 6, 0
	ds_write_b128 v96, v[68:71]
	ds_write_b128 v96, v[72:75] offset:16
	v_add_f64 v[40:41], v[84:85], -v[92:93]
	v_add_f64 v[42:43], v[86:87], -v[94:95]
	;; [unrolled: 1-line block ×6, first 2 shown]
	v_add_f64 v[56:57], v[80:81], v[90:91]
	v_add_f64 v[58:59], v[82:83], -v[88:89]
	v_fma_f64 v[48:49], v[84:85], 2.0, -v[40:41]
	v_fma_f64 v[50:51], v[86:87], 2.0, -v[42:43]
	;; [unrolled: 1-line block ×6, first 2 shown]
	ds_write_b128 v96, v[52:55] offset:32
	ds_write_b128 v96, v[64:67] offset:48
	v_lshl_add_u32 v88, v156, 6, 0
	v_add_f64 v[64:65], v[28:29], -v[36:37]
	ds_write_b128 v88, v[48:51]
	v_fma_f64 v[48:49], v[80:81], 2.0, -v[56:57]
	v_fma_f64 v[50:51], v[82:83], 2.0, -v[58:59]
	v_add_f64 v[52:53], v[76:77], -v[84:85]
	v_add_f64 v[54:55], v[78:79], -v[86:87]
	;; [unrolled: 1-line block ×5, first 2 shown]
	v_add_f64 v[32:33], v[68:69], v[74:75]
	v_add_f64 v[34:35], v[70:71], -v[72:73]
	v_fma_f64 v[72:73], v[28:29], 2.0, -v[64:65]
	v_fma_f64 v[36:37], v[76:77], 2.0, -v[52:53]
	;; [unrolled: 1-line block ×8, first 2 shown]
	v_lshl_add_u32 v145, v155, 6, 0
	ds_write_b128 v88, v[48:51] offset:16
	ds_write_b128 v88, v[40:43] offset:32
	;; [unrolled: 1-line block ×3, first 2 shown]
	ds_write_b128 v145, v[36:39]
	ds_write_b128 v145, v[24:27] offset:16
	v_add_f64 v[48:49], v[12:13], -v[20:21]
	v_add_f64 v[50:51], v[14:15], -v[22:23]
	;; [unrolled: 1-line block ×6, first 2 shown]
	v_add_f64 v[24:25], v[64:65], v[82:83]
	v_add_f64 v[26:27], v[66:67], -v[80:81]
	v_fma_f64 v[40:41], v[12:13], 2.0, -v[48:49]
	v_fma_f64 v[42:43], v[14:15], 2.0, -v[50:51]
	;; [unrolled: 1-line block ×6, first 2 shown]
	ds_write_b128 v145, v[52:55] offset:32
	ds_write_b128 v145, v[32:35] offset:48
	v_add_f64 v[18:19], v[10:11], -v[62:63]
	v_add_f64 v[16:17], v[8:9], -v[60:61]
	v_add_f64 v[36:37], v[48:49], v[36:37]
	v_add_f64 v[32:33], v[40:41], -v[12:13]
	v_add_f64 v[34:35], v[42:43], -v[14:15]
	;; [unrolled: 1-line block ×5, first 2 shown]
	v_lshl_add_u32 v52, v154, 6, 0
	ds_write_b128 v52, v[20:23]
	v_fma_f64 v[20:21], v[64:65], 2.0, -v[24:25]
	v_fma_f64 v[22:23], v[66:67], 2.0, -v[26:27]
	;; [unrolled: 1-line block ×4, first 2 shown]
	v_add_f64 v[0:1], v[12:13], v[18:19]
	v_add_f64 v[2:3], v[14:15], -v[16:17]
	v_fma_f64 v[44:45], v[48:49], 2.0, -v[36:37]
	v_fma_f64 v[46:47], v[50:51], 2.0, -v[38:39]
	ds_write_b128 v52, v[20:23] offset:16
	ds_write_b128 v52, v[28:31] offset:32
	v_lshl_add_u32 v20, v153, 6, 0
	v_cmp_gt_u32_e32 vcc, 42, v144
	ds_write_b128 v52, v[24:27] offset:48
	ds_write_b128 v20, v[40:43]
	ds_write_b128 v20, v[44:47] offset:16
	ds_write_b128 v20, v[32:35] offset:32
	;; [unrolled: 1-line block ×3, first 2 shown]
	s_and_saveexec_b64 s[2:3], vcc
	s_cbranch_execz .LBB0_15
; %bb.14:
	v_fma_f64 v[20:21], v[6:7], 2.0, -v[14:15]
	v_fma_f64 v[6:7], v[10:11], 2.0, -v[18:19]
	;; [unrolled: 1-line block ×6, first 2 shown]
	v_lshl_add_u32 v16, v152, 6, 0
	v_add_f64 v[6:7], v[20:21], -v[6:7]
	v_add_f64 v[4:5], v[18:19], -v[4:5]
	v_fma_f64 v[14:15], v[20:21], 2.0, -v[6:7]
	v_fma_f64 v[12:13], v[18:19], 2.0, -v[4:5]
	ds_write_b128 v16, v[8:11] offset:16
	ds_write_b128 v16, v[4:7] offset:32
	ds_write_b128 v16, v[12:15]
	ds_write_b128 v16, v[0:3] offset:48
.LBB0_15:
	s_or_b64 exec, exec, s[2:3]
	v_and_b32_e32 v56, 3, v144
	v_mul_u32_u24_e32 v4, 6, v56
	v_lshlrev_b32_e32 v4, 4, v4
	s_waitcnt lgkmcnt(0)
	; wave barrier
	s_waitcnt lgkmcnt(0)
	global_load_dwordx4 v[12:15], v4, s[12:13]
	global_load_dwordx4 v[16:19], v4, s[12:13] offset:16
	global_load_dwordx4 v[20:23], v4, s[12:13] offset:32
	;; [unrolled: 1-line block ×5, first 2 shown]
	s_movk_i32 s2, 0xffd0
	ds_read_b128 v[57:60], v226
	ds_read_b128 v[36:39], v226 offset:5376
	ds_read_b128 v[40:43], v226 offset:13440
	;; [unrolled: 1-line block ×5, first 2 shown]
	v_mad_i32_i24 v72, v155, s2, v145
	v_lshl_add_u32 v230, v150, 4, 0
	v_lshl_add_u32 v229, v158, 4, 0
	ds_read_b128 v[61:64], v226 offset:9856
	ds_read_b128 v[65:68], v226 offset:10752
	ds_read_b128 v[73:76], v226 offset:18816
	ds_read_b128 v[77:80], v226 offset:19712
	ds_read_b128 v[81:84], v226 offset:27776
	ds_read_b128 v[85:88], v226 offset:28672
	v_lshl_add_u32 v228, v157, 4, 0
	ds_read_b128 v[89:92], v226 offset:6272
	ds_read_b128 v[93:96], v226 offset:7168
	ds_read_b128 v[97:100], v226 offset:15232
	ds_read_b128 v[101:104], v226 offset:16128
	ds_read_b128 v[105:108], v226 offset:24192
	ds_read_b128 v[109:112], v226 offset:25088
	;; [unrolled: 7-line block ×3, first 2 shown]
	ds_read_b128 v[137:140], v226 offset:20608
	ds_read_b128 v[159:162], v226 offset:21504
	;; [unrolled: 1-line block ×6, first 2 shown]
	ds_read_b128 v[179:182], v72
	ds_read_b128 v[183:186], v230
	;; [unrolled: 1-line block ×5, first 2 shown]
	s_mov_b32 s6, 0x37e14327
	s_mov_b32 s2, 0x36b3c0b5
	;; [unrolled: 1-line block ×20, first 2 shown]
	s_waitcnt lgkmcnt(0)
	; wave barrier
	s_waitcnt lgkmcnt(0)
	v_cmp_gt_u32_e32 vcc, 28, v144
	s_waitcnt vmcnt(5)
	v_mul_f64 v[69:70], v[181:182], v[14:15]
	v_mul_f64 v[141:142], v[179:180], v[14:15]
	s_waitcnt vmcnt(3)
	v_mul_f64 v[195:196], v[42:43], v[22:23]
	v_mul_f64 v[197:198], v[40:41], v[22:23]
	;; [unrolled: 1-line block ×5, first 2 shown]
	s_waitcnt vmcnt(1)
	v_mul_f64 v[203:204], v[50:51], v[30:31]
	v_fma_f64 v[69:70], v[179:180], v[12:13], v[69:70]
	v_fma_f64 v[141:142], v[181:182], v[12:13], -v[141:142]
	v_fma_f64 v[179:180], v[40:41], v[20:21], v[195:196]
	v_fma_f64 v[181:182], v[42:43], v[20:21], -v[197:198]
	;; [unrolled: 2-line block ×3, first 2 shown]
	s_waitcnt vmcnt(0)
	v_mul_f64 v[36:37], v[83:84], v[34:35]
	v_mul_f64 v[38:39], v[81:82], v[34:35]
	;; [unrolled: 1-line block ×10, first 2 shown]
	v_fma_f64 v[113:114], v[113:114], v[16:17], v[191:192]
	v_fma_f64 v[191:192], v[48:49], v[28:29], v[203:204]
	v_mul_f64 v[40:41], v[91:92], v[14:15]
	v_mul_f64 v[42:43], v[89:90], v[14:15]
	v_fma_f64 v[81:82], v[81:82], v[32:33], v[36:37]
	v_fma_f64 v[83:84], v[83:84], v[32:33], -v[38:39]
	v_mul_f64 v[36:37], v[67:68], v[18:19]
	v_mul_f64 v[38:39], v[65:66], v[18:19]
	;; [unrolled: 1-line block ×6, first 2 shown]
	v_fma_f64 v[115:116], v[115:116], v[16:17], -v[193:194]
	v_fma_f64 v[129:130], v[129:130], v[24:25], v[199:200]
	v_fma_f64 v[131:132], v[131:132], v[24:25], -v[201:202]
	v_fma_f64 v[193:194], v[50:51], v[28:29], -v[205:206]
	v_fma_f64 v[163:164], v[163:164], v[32:33], v[207:208]
	v_fma_f64 v[165:166], v[165:166], v[32:33], -v[209:210]
	v_fma_f64 v[199:200], v[44:45], v[20:21], v[219:220]
	;; [unrolled: 2-line block ×3, first 2 shown]
	v_fma_f64 v[91:92], v[91:92], v[12:13], -v[42:43]
	v_mul_f64 v[40:41], v[99:100], v[22:23]
	v_mul_f64 v[42:43], v[97:98], v[22:23]
	;; [unrolled: 1-line block ×5, first 2 shown]
	v_fma_f64 v[207:208], v[65:66], v[16:17], v[36:37]
	v_fma_f64 v[209:210], v[67:68], v[16:17], -v[38:39]
	v_fma_f64 v[105:106], v[105:106], v[28:29], v[48:49]
	v_mul_f64 v[36:37], v[87:88], v[34:35]
	v_mul_f64 v[38:39], v[85:86], v[34:35]
	;; [unrolled: 1-line block ×4, first 2 shown]
	v_fma_f64 v[61:62], v[61:62], v[16:17], v[215:216]
	v_fma_f64 v[63:64], v[63:64], v[16:17], -v[217:218]
	v_fma_f64 v[73:74], v[73:74], v[24:25], v[223:224]
	v_fma_f64 v[97:98], v[97:98], v[20:21], v[40:41]
	v_fma_f64 v[99:100], v[99:100], v[20:21], -v[42:43]
	v_fma_f64 v[211:212], v[77:78], v[24:25], v[44:45]
	v_fma_f64 v[213:214], v[79:80], v[24:25], -v[46:47]
	v_mul_f64 v[40:41], v[95:96], v[14:15]
	v_mul_f64 v[42:43], v[93:94], v[14:15]
	v_mul_f64 v[44:45], v[123:124], v[18:19]
	v_mul_f64 v[46:47], v[121:122], v[18:19]
	v_fma_f64 v[215:216], v[85:86], v[32:33], v[36:37]
	v_fma_f64 v[217:218], v[87:88], v[32:33], -v[38:39]
	v_fma_f64 v[223:224], v[101:102], v[20:21], v[48:49]
	v_mul_f64 v[36:37], v[139:140], v[26:27]
	v_mul_f64 v[38:39], v[137:138], v[26:27]
	;; [unrolled: 1-line block ×5, first 2 shown]
	v_fma_f64 v[107:108], v[107:108], v[28:29], -v[50:51]
	v_mul_f64 v[50:51], v[101:102], v[22:23]
	v_fma_f64 v[219:220], v[93:94], v[12:13], v[40:41]
	v_fma_f64 v[221:222], v[95:96], v[12:13], -v[42:43]
	v_fma_f64 v[121:122], v[121:122], v[16:17], v[44:45]
	v_fma_f64 v[123:124], v[123:124], v[16:17], -v[46:47]
	v_mul_f64 v[44:45], v[173:174], v[34:35]
	v_mul_f64 v[46:47], v[171:172], v[34:35]
	v_fma_f64 v[137:138], v[137:138], v[24:25], v[36:37]
	v_fma_f64 v[139:140], v[139:140], v[24:25], -v[38:39]
	v_fma_f64 v[36:37], v[117:118], v[12:13], v[48:49]
	v_fma_f64 v[38:39], v[119:120], v[12:13], -v[14:15]
	v_mul_f64 v[12:13], v[127:128], v[18:19]
	v_mul_f64 v[14:15], v[125:126], v[18:19]
	;; [unrolled: 1-line block ×5, first 2 shown]
	v_fma_f64 v[75:76], v[75:76], v[24:25], -v[231:232]
	v_fma_f64 v[203:204], v[52:53], v[28:29], v[233:234]
	v_fma_f64 v[231:232], v[103:104], v[20:21], -v[50:51]
	v_mul_f64 v[40:41], v[111:112], v[30:31]
	v_mul_f64 v[42:43], v[109:110], v[30:31]
	v_fma_f64 v[171:172], v[171:172], v[32:33], v[44:45]
	v_fma_f64 v[173:174], v[173:174], v[32:33], -v[46:47]
	v_mul_f64 v[18:19], v[135:136], v[22:23]
	v_mul_f64 v[22:23], v[133:134], v[22:23]
	;; [unrolled: 1-line block ×4, first 2 shown]
	v_fma_f64 v[44:45], v[125:126], v[16:17], v[12:13]
	v_fma_f64 v[46:47], v[127:128], v[16:17], -v[14:15]
	v_fma_f64 v[48:49], v[159:160], v[24:25], v[48:49]
	v_fma_f64 v[50:51], v[161:162], v[24:25], -v[26:27]
	v_add_f64 v[12:13], v[69:70], v[163:164]
	v_add_f64 v[14:15], v[141:142], v[165:166]
	;; [unrolled: 1-line block ×4, first 2 shown]
	v_fma_f64 v[205:206], v[54:55], v[28:29], -v[235:236]
	v_fma_f64 v[233:234], v[109:110], v[28:29], v[40:41]
	v_fma_f64 v[235:236], v[111:112], v[28:29], -v[42:43]
	v_fma_f64 v[40:41], v[133:134], v[20:21], v[18:19]
	;; [unrolled: 2-line block ×3, first 2 shown]
	v_fma_f64 v[54:55], v[169:170], v[28:29], -v[30:31]
	v_mul_f64 v[16:17], v[177:178], v[34:35]
	v_mul_f64 v[18:19], v[175:176], v[34:35]
	v_add_f64 v[20:21], v[69:70], -v[163:164]
	v_add_f64 v[22:23], v[141:142], -v[165:166]
	;; [unrolled: 1-line block ×4, first 2 shown]
	v_add_f64 v[34:35], v[179:180], v[129:130]
	v_add_f64 v[65:66], v[181:182], v[131:132]
	v_add_f64 v[67:68], v[129:130], -v[179:180]
	v_add_f64 v[69:70], v[131:132], -v[181:182]
	v_add_f64 v[77:78], v[24:25], v[12:13]
	v_add_f64 v[79:80], v[26:27], v[14:15]
	v_add_f64 v[85:86], v[24:25], -v[12:13]
	v_add_f64 v[87:88], v[26:27], -v[14:15]
	;; [unrolled: 1-line block ×6, first 2 shown]
	v_add_f64 v[12:13], v[67:68], v[28:29]
	v_add_f64 v[14:15], v[69:70], v[30:31]
	v_add_f64 v[101:102], v[67:68], -v[28:29]
	v_add_f64 v[103:104], v[69:70], -v[30:31]
	v_add_f64 v[34:35], v[34:35], v[77:78]
	v_add_f64 v[65:66], v[65:66], v[79:80]
	v_add_f64 v[28:29], v[28:29], -v[20:21]
	v_add_f64 v[30:31], v[30:31], -v[22:23]
	;; [unrolled: 1-line block ×4, first 2 shown]
	v_add_f64 v[20:21], v[12:13], v[20:21]
	v_add_f64 v[22:23], v[14:15], v[22:23]
	v_add_f64 v[12:13], v[57:58], v[34:35]
	v_add_f64 v[14:15], v[59:60], v[65:66]
	v_mul_f64 v[57:58], v[93:94], s[6:7]
	v_mul_f64 v[59:60], v[95:96], s[6:7]
	;; [unrolled: 1-line block ×8, first 2 shown]
	v_fma_f64 v[34:35], v[34:35], s[16:17], v[12:13]
	v_fma_f64 v[65:66], v[65:66], s[16:17], v[14:15]
	v_fma_f64 v[24:25], v[24:25], s[2:3], v[57:58]
	v_fma_f64 v[26:27], v[26:27], s[2:3], v[59:60]
	v_fma_f64 v[77:78], v[85:86], s[18:19], -v[77:78]
	v_fma_f64 v[79:80], v[87:88], s[18:19], -v[79:80]
	;; [unrolled: 1-line block ×4, first 2 shown]
	v_fma_f64 v[85:86], v[67:68], s[22:23], v[93:94]
	v_fma_f64 v[87:88], v[69:70], s[22:23], v[95:96]
	v_fma_f64 v[28:29], v[28:29], s[8:9], -v[93:94]
	v_fma_f64 v[30:31], v[30:31], s[8:9], -v[95:96]
	;; [unrolled: 1-line block ×4, first 2 shown]
	v_add_f64 v[95:96], v[26:27], v[65:66]
	v_add_f64 v[77:78], v[77:78], v[34:35]
	;; [unrolled: 1-line block ×5, first 2 shown]
	v_fma_f64 v[65:66], v[22:23], s[24:25], v[87:88]
	v_fma_f64 v[85:86], v[20:21], s[24:25], v[85:86]
	;; [unrolled: 1-line block ×6, first 2 shown]
	v_add_f64 v[93:94], v[24:25], v[34:35]
	v_fma_f64 v[141:142], v[175:176], v[32:33], v[16:17]
	v_fma_f64 v[159:160], v[177:178], v[32:33], -v[18:19]
	v_add_f64 v[26:27], v[95:96], -v[85:86]
	v_add_f64 v[28:29], v[69:70], v[57:58]
	v_add_f64 v[30:31], v[59:60], -v[67:68]
	v_add_f64 v[32:33], v[77:78], -v[22:23]
	v_add_f64 v[34:35], v[20:21], v[79:80]
	v_add_f64 v[16:17], v[22:23], v[77:78]
	v_add_f64 v[18:19], v[79:80], -v[20:21]
	v_add_f64 v[20:21], v[57:58], -v[69:70]
	v_add_f64 v[22:23], v[67:68], v[59:60]
	v_add_f64 v[57:58], v[195:196], v[81:82]
	v_add_f64 v[59:60], v[197:198], v[83:84]
	v_add_f64 v[77:78], v[61:62], v[203:204]
	v_add_f64 v[79:80], v[63:64], v[205:206]
	v_add_f64 v[67:68], v[195:196], -v[81:82]
	v_add_f64 v[69:70], v[197:198], -v[83:84]
	;; [unrolled: 1-line block ×4, first 2 shown]
	v_add_f64 v[81:82], v[199:200], v[73:74]
	v_add_f64 v[83:84], v[201:202], v[75:76]
	v_add_f64 v[73:74], v[73:74], -v[199:200]
	v_add_f64 v[75:76], v[75:76], -v[201:202]
	v_add_f64 v[87:88], v[77:78], v[57:58]
	v_add_f64 v[101:102], v[79:80], v[59:60]
	v_add_f64 v[103:104], v[77:78], -v[57:58]
	v_add_f64 v[109:110], v[79:80], -v[59:60]
	;; [unrolled: 1-line block ×6, first 2 shown]
	v_add_f64 v[57:58], v[73:74], v[61:62]
	v_add_f64 v[59:60], v[75:76], v[63:64]
	v_add_f64 v[115:116], v[73:74], -v[61:62]
	v_add_f64 v[117:118], v[75:76], -v[63:64]
	v_add_f64 v[81:82], v[81:82], v[87:88]
	v_add_f64 v[83:84], v[83:84], v[101:102]
	v_add_f64 v[61:62], v[61:62], -v[67:68]
	v_add_f64 v[63:64], v[63:64], -v[69:70]
	;; [unrolled: 1-line block ×4, first 2 shown]
	v_add_f64 v[67:68], v[57:58], v[67:68]
	v_add_f64 v[69:70], v[59:60], v[69:70]
	;; [unrolled: 1-line block ×4, first 2 shown]
	v_mul_f64 v[87:88], v[111:112], s[6:7]
	v_mul_f64 v[101:102], v[113:114], s[6:7]
	;; [unrolled: 1-line block ×8, first 2 shown]
	v_fma_f64 v[81:82], v[81:82], s[16:17], v[57:58]
	v_fma_f64 v[83:84], v[83:84], s[16:17], v[59:60]
	;; [unrolled: 1-line block ×4, first 2 shown]
	v_fma_f64 v[111:112], v[103:104], s[18:19], -v[111:112]
	v_fma_f64 v[113:114], v[109:110], s[18:19], -v[113:114]
	;; [unrolled: 1-line block ×4, first 2 shown]
	v_fma_f64 v[103:104], v[73:74], s[22:23], v[115:116]
	v_fma_f64 v[109:110], v[75:76], s[22:23], v[117:118]
	v_fma_f64 v[63:64], v[63:64], s[8:9], -v[117:118]
	v_fma_f64 v[73:74], v[73:74], s[26:27], -v[119:120]
	v_fma_f64 v[75:76], v[75:76], s[26:27], -v[125:126]
	v_fma_f64 v[61:62], v[61:62], s[8:9], -v[115:116]
	v_add_f64 v[111:112], v[111:112], v[81:82]
	v_add_f64 v[87:88], v[87:88], v[81:82]
	;; [unrolled: 1-line block ×3, first 2 shown]
	v_fma_f64 v[109:110], v[69:70], s[24:25], v[109:110]
	v_add_f64 v[24:25], v[65:66], v[93:94]
	v_fma_f64 v[125:126], v[67:68], s[24:25], v[73:74]
	v_fma_f64 v[119:120], v[69:70], s[24:25], v[75:76]
	;; [unrolled: 1-line block ×3, first 2 shown]
	v_add_f64 v[115:116], v[77:78], v[81:82]
	v_add_f64 v[117:118], v[79:80], v[83:84]
	;; [unrolled: 1-line block ×3, first 2 shown]
	v_fma_f64 v[83:84], v[67:68], s[24:25], v[61:62]
	v_add_f64 v[61:62], v[93:94], -v[65:66]
	v_add_f64 v[63:64], v[85:86], v[95:96]
	v_add_f64 v[73:74], v[119:120], v[87:88]
	v_add_f64 v[75:76], v[101:102], -v[125:126]
	v_add_f64 v[77:78], v[111:112], -v[69:70]
	v_add_f64 v[81:82], v[69:70], v[111:112]
	v_add_f64 v[85:86], v[87:88], -v[119:120]
	v_add_f64 v[87:88], v[125:126], v[101:102]
	v_add_f64 v[69:70], v[89:90], v[215:216]
	;; [unrolled: 1-line block ×6, first 2 shown]
	v_add_f64 v[83:84], v[113:114], -v[83:84]
	v_add_f64 v[89:90], v[89:90], -v[215:216]
	;; [unrolled: 1-line block ×5, first 2 shown]
	v_add_f64 v[111:112], v[97:98], v[211:212]
	v_add_f64 v[113:114], v[99:100], v[213:214]
	v_add_f64 v[97:98], v[211:212], -v[97:98]
	v_add_f64 v[99:100], v[213:214], -v[99:100]
	v_add_f64 v[119:120], v[95:96], v[69:70]
	v_add_f64 v[125:126], v[101:102], v[93:94]
	v_add_f64 v[127:128], v[95:96], -v[69:70]
	v_add_f64 v[129:130], v[101:102], -v[93:94]
	;; [unrolled: 1-line block ×6, first 2 shown]
	v_add_f64 v[131:132], v[97:98], v[105:106]
	v_add_f64 v[133:134], v[99:100], v[107:108]
	v_add_f64 v[135:136], v[97:98], -v[105:106]
	v_add_f64 v[161:162], v[99:100], -v[107:108]
	v_add_f64 v[111:112], v[111:112], v[119:120]
	v_add_f64 v[113:114], v[113:114], v[125:126]
	v_add_f64 v[105:106], v[105:106], -v[89:90]
	v_add_f64 v[107:108], v[107:108], -v[91:92]
	;; [unrolled: 1-line block ×4, first 2 shown]
	v_add_f64 v[119:120], v[131:132], v[89:90]
	v_add_f64 v[125:126], v[133:134], v[91:92]
	;; [unrolled: 1-line block ×4, first 2 shown]
	v_mul_f64 v[69:70], v[69:70], s[6:7]
	v_mul_f64 v[93:94], v[93:94], s[6:7]
	;; [unrolled: 1-line block ×8, first 2 shown]
	v_fma_f64 v[111:112], v[111:112], s[16:17], v[89:90]
	v_fma_f64 v[113:114], v[113:114], s[16:17], v[91:92]
	;; [unrolled: 1-line block ×4, first 2 shown]
	v_fma_f64 v[131:132], v[127:128], s[18:19], -v[131:132]
	v_fma_f64 v[133:134], v[129:130], s[18:19], -v[133:134]
	;; [unrolled: 1-line block ×4, first 2 shown]
	v_fma_f64 v[127:128], v[97:98], s[22:23], v[135:136]
	v_fma_f64 v[129:130], v[99:100], s[22:23], v[161:162]
	v_fma_f64 v[105:106], v[105:106], s[8:9], -v[135:136]
	v_fma_f64 v[107:108], v[107:108], s[8:9], -v[161:162]
	;; [unrolled: 1-line block ×4, first 2 shown]
	v_fma_f64 v[103:104], v[67:68], s[24:25], v[103:104]
	v_add_f64 v[135:136], v[95:96], v[111:112]
	v_add_f64 v[161:162], v[101:102], v[113:114]
	;; [unrolled: 1-line block ×6, first 2 shown]
	v_fma_f64 v[127:128], v[119:120], s[24:25], v[127:128]
	v_fma_f64 v[113:114], v[125:126], s[24:25], v[99:100]
	;; [unrolled: 1-line block ×5, first 2 shown]
	v_add_f64 v[65:66], v[109:110], v[115:116]
	v_add_f64 v[67:68], v[117:118], -v[103:104]
	v_add_f64 v[93:94], v[115:116], -v[109:110]
	v_add_f64 v[95:96], v[103:104], v[117:118]
	v_add_f64 v[101:102], v[113:114], v[69:70]
	v_add_f64 v[113:114], v[69:70], -v[113:114]
	v_add_f64 v[105:106], v[131:132], -v[111:112]
	v_add_f64 v[107:108], v[119:120], v[133:134]
	v_add_f64 v[109:110], v[111:112], v[131:132]
	v_add_f64 v[111:112], v[133:134], -v[119:120]
	v_add_f64 v[69:70], v[219:220], v[171:172]
	v_add_f64 v[117:118], v[221:222], v[173:174]
	;; [unrolled: 1-line block ×4, first 2 shown]
	v_fma_f64 v[129:130], v[125:126], s[24:25], v[129:130]
	v_add_f64 v[103:104], v[163:164], -v[165:166]
	v_add_f64 v[115:116], v[165:166], v[163:164]
	v_add_f64 v[119:120], v[219:220], -v[171:172]
	v_add_f64 v[125:126], v[221:222], -v[173:174]
	;; [unrolled: 1-line block ×4, first 2 shown]
	v_add_f64 v[163:164], v[223:224], v[137:138]
	v_add_f64 v[165:166], v[231:232], v[139:140]
	v_add_f64 v[137:138], v[137:138], -v[223:224]
	v_add_f64 v[139:140], v[139:140], -v[231:232]
	v_add_f64 v[167:168], v[131:132], v[69:70]
	v_add_f64 v[169:170], v[133:134], v[117:118]
	v_add_f64 v[171:172], v[131:132], -v[69:70]
	v_add_f64 v[173:174], v[133:134], -v[117:118]
	;; [unrolled: 1-line block ×6, first 2 shown]
	v_add_f64 v[175:176], v[137:138], v[121:122]
	v_add_f64 v[177:178], v[139:140], v[123:124]
	v_add_f64 v[179:180], v[137:138], -v[121:122]
	v_add_f64 v[181:182], v[139:140], -v[123:124]
	v_add_f64 v[163:164], v[163:164], v[167:168]
	v_add_f64 v[165:166], v[165:166], v[169:170]
	v_add_f64 v[121:122], v[121:122], -v[119:120]
	v_add_f64 v[123:124], v[123:124], -v[125:126]
	;; [unrolled: 1-line block ×4, first 2 shown]
	v_add_f64 v[119:120], v[175:176], v[119:120]
	v_add_f64 v[125:126], v[177:178], v[125:126]
	;; [unrolled: 1-line block ×4, first 2 shown]
	v_mul_f64 v[69:70], v[69:70], s[6:7]
	v_mul_f64 v[117:118], v[117:118], s[6:7]
	;; [unrolled: 1-line block ×8, first 2 shown]
	v_fma_f64 v[163:164], v[163:164], s[16:17], v[8:9]
	v_fma_f64 v[165:166], v[165:166], s[16:17], v[10:11]
	;; [unrolled: 1-line block ×4, first 2 shown]
	v_fma_f64 v[167:168], v[171:172], s[18:19], -v[167:168]
	v_fma_f64 v[169:170], v[173:174], s[18:19], -v[169:170]
	;; [unrolled: 1-line block ×4, first 2 shown]
	v_fma_f64 v[171:172], v[137:138], s[22:23], v[175:176]
	v_fma_f64 v[173:174], v[139:140], s[22:23], v[177:178]
	v_fma_f64 v[123:124], v[123:124], s[8:9], -v[177:178]
	v_fma_f64 v[137:138], v[137:138], s[26:27], -v[179:180]
	;; [unrolled: 1-line block ×4, first 2 shown]
	v_add_f64 v[177:178], v[133:134], v[165:166]
	v_add_f64 v[133:134], v[167:168], v[163:164]
	;; [unrolled: 1-line block ×4, first 2 shown]
	v_fma_f64 v[169:170], v[119:120], s[24:25], v[171:172]
	v_fma_f64 v[171:172], v[119:120], s[24:25], v[137:138]
	;; [unrolled: 1-line block ×4, first 2 shown]
	v_add_f64 v[97:98], v[129:130], v[135:136]
	v_add_f64 v[99:100], v[161:162], -v[127:128]
	v_add_f64 v[175:176], v[131:132], v[163:164]
	v_add_f64 v[163:164], v[117:118], v[165:166]
	v_fma_f64 v[165:166], v[125:126], s[24:25], v[173:174]
	v_fma_f64 v[173:174], v[119:120], s[24:25], v[121:122]
	v_add_f64 v[117:118], v[135:136], -v[129:130]
	v_add_f64 v[119:120], v[127:128], v[161:162]
	v_add_f64 v[125:126], v[139:140], v[69:70]
	v_add_f64 v[129:130], v[133:134], -v[137:138]
	v_add_f64 v[133:134], v[137:138], v[133:134]
	v_add_f64 v[137:138], v[69:70], -v[139:140]
	v_add_f64 v[69:70], v[36:37], v[141:142]
	v_add_f64 v[161:162], v[38:39], v[159:160]
	v_add_f64 v[36:37], v[36:37], -v[141:142]
	v_add_f64 v[38:39], v[38:39], -v[159:160]
	v_add_f64 v[141:142], v[44:45], v[52:53]
	v_add_f64 v[159:160], v[46:47], v[54:55]
	v_add_f64 v[44:45], v[44:45], -v[52:53]
	;; [unrolled: 4-line block ×4, first 2 shown]
	v_add_f64 v[131:132], v[173:174], v[167:168]
	v_add_f64 v[135:136], v[167:168], -v[173:174]
	v_add_f64 v[139:140], v[171:172], v[163:164]
	v_add_f64 v[163:164], v[141:142], -v[69:70]
	v_add_f64 v[167:168], v[159:160], -v[161:162]
	;; [unrolled: 1-line block ×5, first 2 shown]
	v_add_f64 v[171:172], v[40:41], v[44:45]
	v_add_f64 v[173:174], v[42:43], v[46:47]
	v_add_f64 v[181:182], v[42:43], -v[46:47]
	v_add_f64 v[48:49], v[52:53], v[48:49]
	v_add_f64 v[50:51], v[54:55], v[50:51]
	v_add_f64 v[159:160], v[54:55], -v[159:160]
	v_add_f64 v[179:180], v[40:41], -v[44:45]
	;; [unrolled: 1-line block ×6, first 2 shown]
	v_add_f64 v[52:53], v[171:172], v[36:37]
	v_add_f64 v[54:55], v[173:174], v[38:39]
	;; [unrolled: 1-line block ×4, first 2 shown]
	v_mul_f64 v[4:5], v[69:70], s[6:7]
	v_mul_f64 v[6:7], v[161:162], s[6:7]
	v_mul_f64 v[69:70], v[141:142], s[2:3]
	v_mul_f64 v[173:174], v[181:182], s[14:15]
	v_mul_f64 v[161:162], v[159:160], s[2:3]
	v_mul_f64 v[171:172], v[179:180], s[14:15]
	v_mul_f64 v[179:180], v[44:45], s[8:9]
	v_mul_f64 v[181:182], v[46:47], s[8:9]
	v_fma_f64 v[48:49], v[48:49], s[16:17], v[36:37]
	v_fma_f64 v[50:51], v[50:51], s[16:17], v[38:39]
	;; [unrolled: 1-line block ×3, first 2 shown]
	v_fma_f64 v[69:70], v[163:164], s[18:19], -v[69:70]
	v_fma_f64 v[46:47], v[46:47], s[8:9], -v[173:174]
	v_fma_f64 v[141:142], v[141:142], s[2:3], v[4:5]
	v_fma_f64 v[4:5], v[163:164], s[20:21], -v[4:5]
	v_fma_f64 v[163:164], v[40:41], s[22:23], v[171:172]
	v_fma_f64 v[44:45], v[44:45], s[8:9], -v[171:172]
	v_fma_f64 v[40:41], v[40:41], s[26:27], -v[179:180]
	v_add_f64 v[171:172], v[159:160], v[50:51]
	v_add_f64 v[69:70], v[69:70], v[48:49]
	v_fma_f64 v[159:160], v[54:55], s[24:25], v[46:47]
	v_fma_f64 v[161:162], v[167:168], s[18:19], -v[161:162]
	v_fma_f64 v[6:7], v[167:168], s[20:21], -v[6:7]
	v_fma_f64 v[167:168], v[42:43], s[22:23], v[173:174]
	v_fma_f64 v[42:43], v[42:43], s[26:27], -v[181:182]
	v_fma_f64 v[173:174], v[52:53], s[24:25], v[163:164]
	v_fma_f64 v[179:180], v[52:53], s[24:25], v[40:41]
	;; [unrolled: 1-line block ×3, first 2 shown]
	v_add_f64 v[52:53], v[69:70], -v[159:160]
	v_add_f64 v[159:160], v[159:160], v[69:70]
	v_lshrrev_b32_e32 v69, 2, v144
	v_mul_u32_u24_e32 v69, 28, v69
	v_or_b32_e32 v69, v69, v56
	v_lshl_add_u32 v69, v69, 4, 0
	ds_write_b128 v69, v[12:15]
	ds_write_b128 v69, v[24:27] offset:64
	ds_write_b128 v69, v[28:31] offset:128
	;; [unrolled: 1-line block ×3, first 2 shown]
	v_lshrrev_b32_e32 v12, 2, v150
	v_mul_lo_u32 v12, v12, 28
	v_lshrrev_b32_e32 v13, 2, v158
	v_mul_lo_u32 v13, v13, 28
	v_add_f64 v[141:142], v[141:142], v[48:49]
	v_or_b32_e32 v12, v12, v56
	v_fma_f64 v[167:168], v[54:55], s[24:25], v[167:168]
	v_lshl_add_u32 v12, v12, 4, 0
	v_add_f64 v[121:122], v[165:166], v[175:176]
	v_add_f64 v[123:124], v[177:178], -v[169:170]
	v_add_f64 v[4:5], v[4:5], v[48:49]
	v_add_f64 v[6:7], v[6:7], v[50:51]
	v_fma_f64 v[163:164], v[54:55], s[24:25], v[42:43]
	ds_write_b128 v69, v[16:19] offset:256
	ds_write_b128 v69, v[20:23] offset:320
	;; [unrolled: 1-line block ×3, first 2 shown]
	ds_write_b128 v12, v[57:60]
	ds_write_b128 v12, v[65:68] offset:64
	ds_write_b128 v12, v[73:76] offset:128
	;; [unrolled: 1-line block ×6, first 2 shown]
	v_or_b32_e32 v12, v13, v56
	v_lshrrev_b32_e32 v13, 2, v157
	v_add_f64 v[161:162], v[161:162], v[50:51]
	v_mul_lo_u32 v13, v13, 28
	v_lshl_add_u32 v12, v12, 4, 0
	ds_write_b128 v12, v[89:92]
	ds_write_b128 v12, v[97:100] offset:64
	ds_write_b128 v12, v[101:104] offset:128
	;; [unrolled: 1-line block ×6, first 2 shown]
	v_or_b32_e32 v12, v13, v56
	v_lshl_add_u32 v12, v12, 4, 0
	v_add_f64 v[44:45], v[167:168], v[141:142]
	v_add_f64 v[46:47], v[171:172], -v[173:174]
	ds_write_b128 v12, v[8:11]
	ds_write_b128 v12, v[121:124] offset:64
	ds_write_b128 v12, v[125:128] offset:128
	;; [unrolled: 1-line block ×3, first 2 shown]
	v_lshrrev_b32_e32 v8, 2, v156
	v_add_f64 v[40:41], v[175:176], -v[165:166]
	v_add_f64 v[42:43], v[169:170], v[177:178]
	v_add_f64 v[48:49], v[163:164], v[4:5]
	v_add_f64 v[50:51], v[6:7], -v[179:180]
	v_mul_lo_u32 v8, v8, 28
	v_add_f64 v[54:55], v[181:182], v[161:162]
	v_add_f64 v[161:162], v[161:162], -v[181:182]
	v_add_f64 v[163:164], v[4:5], -v[163:164]
	v_add_f64 v[165:166], v[179:180], v[6:7]
	v_add_f64 v[4:5], v[141:142], -v[167:168]
	v_add_f64 v[6:7], v[173:174], v[171:172]
	v_or_b32_e32 v8, v8, v56
	v_lshl_add_u32 v8, v8, 4, 0
	v_lshl_add_u32 v233, v154, 4, 0
	ds_write_b128 v12, v[133:136] offset:256
	ds_write_b128 v12, v[137:140] offset:320
	;; [unrolled: 1-line block ×3, first 2 shown]
	ds_write_b128 v8, v[36:39]
	ds_write_b128 v8, v[44:47] offset:64
	ds_write_b128 v8, v[48:51] offset:128
	;; [unrolled: 1-line block ×6, first 2 shown]
	s_waitcnt lgkmcnt(0)
	; wave barrier
	s_waitcnt lgkmcnt(0)
	ds_read_b128 v[60:63], v230
	ds_read_b128 v[64:67], v229
	ds_read_b128 v[124:127], v226 offset:16576
	ds_read_b128 v[120:123], v226 offset:17472
	ds_read_b128 v[68:71], v228
	ds_read_b128 v[56:59], v227
	ds_read_b128 v[132:135], v226 offset:18368
	ds_read_b128 v[128:131], v226 offset:19264
	;; [unrolled: 1-line block ×4, first 2 shown]
	v_lshl_add_u32 v232, v153, 4, 0
	ds_read_b128 v[48:51], v233
	ds_read_b128 v[44:47], v232
	v_lshl_add_u32 v231, v152, 4, 0
	ds_read_b128 v[52:55], v72
	ds_read_b128 v[40:43], v231
	ds_read_b128 v[116:119], v226 offset:21952
	ds_read_b128 v[104:107], v226 offset:22848
	ds_read_b128 v[72:75], v226
	ds_read_b128 v[28:31], v226 offset:8064
	ds_read_b128 v[108:111], v226 offset:23744
	;; [unrolled: 1-line block ×17, first 2 shown]
	s_and_saveexec_b64 s[2:3], vcc
	s_cbranch_execz .LBB0_17
; %bb.16:
	ds_read_b128 v[4:7], v226 offset:15232
	ds_read_b128 v[0:3], v226 offset:30912
.LBB0_17:
	s_or_b64 exec, exec, s[2:3]
	v_subrev_u32_e32 v151, 28, v144
	v_cndmask_b32_e32 v168, v151, v144, vcc
	v_mov_b32_e32 v169, 0
	v_lshlrev_b64 v[159:160], 4, v[168:169]
	v_mov_b32_e32 v151, s13
	v_add_co_u32_e64 v161, s[2:3], s12, v159
	v_addc_co_u32_e64 v162, s[2:3], v151, v160, s[2:3]
	v_lshrrev_b16_e32 v151, 2, v150
	v_and_b32_e32 v151, 63, v151
	v_mul_lo_u16_e32 v151, 37, v151
	v_mov_b32_e32 v160, 28
	v_mul_lo_u16_sdwa v159, v151, v160 dst_sel:DWORD dst_unused:UNUSED_PAD src0_sel:BYTE_1 src1_sel:DWORD
	v_sub_u16_e32 v159, v150, v159
	v_mov_b32_e32 v163, 4
	v_lshlrev_b32_sdwa v159, v163, v159 dst_sel:DWORD dst_unused:UNUSED_PAD src0_sel:DWORD src1_sel:BYTE_0
	global_load_dwordx4 v[182:185], v[161:162], off offset:384
	global_load_dwordx4 v[186:189], v159, s[12:13] offset:384
	v_lshrrev_b16_e32 v161, 2, v158
	v_and_b32_e32 v161, 63, v161
	v_mul_lo_u16_e32 v170, 37, v161
	v_mul_lo_u16_sdwa v161, v170, v160 dst_sel:DWORD dst_unused:UNUSED_PAD src0_sel:BYTE_1 src1_sel:DWORD
	v_sub_u16_e32 v161, v158, v161
	v_lshlrev_b32_sdwa v171, v163, v161 dst_sel:DWORD dst_unused:UNUSED_PAD src0_sel:DWORD src1_sel:BYTE_0
	v_lshrrev_b16_e32 v161, 2, v157
	v_and_b32_e32 v161, 63, v161
	v_mul_lo_u16_e32 v172, 37, v161
	v_mul_lo_u16_sdwa v160, v172, v160 dst_sel:DWORD dst_unused:UNUSED_PAD src0_sel:BYTE_1 src1_sel:DWORD
	v_sub_u16_e32 v160, v157, v160
	v_lshlrev_b32_sdwa v173, v163, v160 dst_sel:DWORD dst_unused:UNUSED_PAD src0_sel:DWORD src1_sel:BYTE_0
	v_lshrrev_b16_e32 v160, 2, v156
	v_mul_u32_u24_e32 v160, 0x4925, v160
	v_lshrrev_b32_e32 v174, 17, v160
	v_mul_lo_u16_e32 v160, 28, v174
	global_load_dwordx4 v[190:193], v171, s[12:13] offset:384
	global_load_dwordx4 v[194:197], v173, s[12:13] offset:384
	v_sub_u16_e32 v160, v156, v160
	v_lshlrev_b32_e32 v175, 4, v160
	v_lshrrev_b16_e32 v160, 2, v155
	v_mul_u32_u24_e32 v160, 0x4925, v160
	v_lshrrev_b32_e32 v176, 17, v160
	v_mul_lo_u16_e32 v160, 28, v176
	v_sub_u16_e32 v160, v155, v160
	global_load_dwordx4 v[198:201], v175, s[12:13] offset:384
	v_lshlrev_b32_e32 v177, 4, v160
	global_load_dwordx4 v[202:205], v177, s[12:13] offset:384
	v_lshrrev_b16_e32 v178, 2, v154
	v_lshrrev_b16_e32 v179, 2, v153
	;; [unrolled: 1-line block ×3, first 2 shown]
	v_mul_u32_u24_e32 v178, 0x4925, v178
	v_mul_u32_u24_e32 v179, 0x4925, v179
	;; [unrolled: 1-line block ×3, first 2 shown]
	v_lshrrev_b32_e32 v180, 17, v178
	v_lshrrev_b32_e32 v178, 17, v179
	v_mul_lo_u16_e32 v179, 28, v180
	v_mul_lo_u16_e32 v181, 28, v178
	v_sub_u16_e32 v179, v154, v179
	v_sub_u16_e32 v206, v153, v181
	v_lshlrev_b32_e32 v181, 4, v179
	v_lshlrev_b32_e32 v179, 4, v206
	global_load_dwordx4 v[206:209], v181, s[12:13] offset:384
	global_load_dwordx4 v[210:213], v179, s[12:13] offset:384
	v_add_u32_e32 v166, 0x230, v144
	v_add_u32_e32 v167, 0x1f8, v144
	;; [unrolled: 1-line block ×7, first 2 shown]
	v_or_b32_e32 v160, 0x380, v144
	v_cmp_lt_u32_e64 s[2:3], 27, v144
	s_movk_i32 s6, 0x380
	s_waitcnt vmcnt(7) lgkmcnt(3)
	v_mul_f64 v[214:215], v[142:143], v[184:185]
	s_waitcnt vmcnt(6)
	v_mul_f64 v[216:217], v[126:127], v[188:189]
	v_mul_f64 v[188:189], v[124:125], v[188:189]
	;; [unrolled: 1-line block ×3, first 2 shown]
	v_fma_f64 v[234:235], v[140:141], v[182:183], v[214:215]
	v_fma_f64 v[238:239], v[124:125], v[186:187], v[216:217]
	v_lshrrev_b16_e32 v124, 2, v166
	v_mul_u32_u24_e32 v124, 0x4925, v124
	v_fma_f64 v[240:241], v[126:127], v[186:187], -v[188:189]
	v_lshrrev_b32_e32 v127, 17, v124
	v_mul_lo_u16_e32 v124, 28, v127
	v_sub_u16_e32 v124, v166, v124
	v_fma_f64 v[236:237], v[142:143], v[182:183], -v[184:185]
	s_waitcnt vmcnt(5)
	v_mul_f64 v[218:219], v[122:123], v[192:193]
	v_mul_f64 v[192:193], v[120:121], v[192:193]
	s_waitcnt vmcnt(4)
	v_mul_f64 v[220:221], v[134:135], v[196:197]
	v_mul_f64 v[196:197], v[132:133], v[196:197]
	v_lshlrev_b32_e32 v126, 2, v156
	v_fma_f64 v[218:219], v[120:121], v[190:191], v[218:219]
	s_waitcnt vmcnt(3)
	v_mul_f64 v[222:223], v[130:131], v[200:201]
	v_mul_f64 v[200:201], v[128:129], v[200:201]
	s_waitcnt vmcnt(2)
	v_mul_f64 v[224:225], v[138:139], v[204:205]
	v_fma_f64 v[242:243], v[122:123], v[190:191], -v[192:193]
	v_fma_f64 v[220:221], v[132:133], v[194:195], v[220:221]
	v_lshrrev_b16_e32 v122, 2, v167
	v_lshlrev_b32_e32 v133, 4, v124
	v_lshrrev_b16_e32 v124, 2, v165
	v_lshrrev_b32_e32 v120, 17, v250
	v_mul_u32_u24_e32 v122, 0x4925, v122
	v_mul_u32_u24_e32 v124, 0x4925, v124
	v_fma_f64 v[244:245], v[134:135], v[194:195], -v[196:197]
	v_mul_lo_u16_e32 v121, 28, v120
	v_lshrrev_b32_e32 v122, 17, v122
	v_lshrrev_b32_e32 v134, 17, v124
	v_sub_u16_e32 v121, v152, v121
	v_mul_lo_u16_e32 v123, 28, v122
	v_mul_lo_u16_e32 v124, 28, v134
	v_mul_f64 v[204:205], v[136:137], v[204:205]
	v_lshlrev_b32_e32 v121, 4, v121
	v_sub_u16_e32 v123, v167, v123
	v_sub_u16_e32 v124, v165, v124
	v_fma_f64 v[222:223], v[128:129], v[198:199], v[222:223]
	v_fma_f64 v[246:247], v[130:131], v[198:199], -v[200:201]
	v_lshlrev_b32_e32 v123, 4, v123
	global_load_dwordx4 v[128:131], v121, s[12:13] offset:384
	global_load_dwordx4 v[140:143], v123, s[12:13] offset:384
	v_lshlrev_b32_e32 v135, 4, v124
	v_lshrrev_b16_e32 v124, 2, v164
	v_mul_u32_u24_e32 v124, 0x4925, v124
	v_fma_f64 v[224:225], v[136:137], v[202:203], v[224:225]
	v_lshrrev_b32_e32 v136, 17, v124
	v_mul_lo_u16_e32 v124, 28, v136
	v_sub_u16_e32 v124, v164, v124
	v_lshlrev_b32_e32 v137, 4, v124
	v_lshrrev_b16_e32 v124, 2, v163
	v_mul_u32_u24_e32 v124, 0x4925, v124
	v_fma_f64 v[248:249], v[138:139], v[202:203], -v[204:205]
	v_lshrrev_b32_e32 v138, 17, v124
	global_load_dwordx4 v[182:185], v133, s[12:13] offset:384
	global_load_dwordx4 v[186:189], v135, s[12:13] offset:384
	v_mul_lo_u16_e32 v124, 28, v138
	v_sub_u16_e32 v124, v163, v124
	v_lshlrev_b32_e32 v139, 4, v124
	v_lshrrev_b16_e32 v124, 2, v162
	v_mul_u32_u24_e32 v124, 0x4925, v124
	v_lshrrev_b32_e32 v250, 17, v124
	v_mul_lo_u16_e32 v124, 28, v250
	v_sub_u16_e32 v124, v162, v124
	v_lshlrev_b32_e32 v251, 4, v124
	v_lshrrev_b16_e32 v124, 2, v161
	global_load_dwordx4 v[190:193], v137, s[12:13] offset:384
	global_load_dwordx4 v[194:197], v139, s[12:13] offset:384
	v_mul_u32_u24_e32 v124, 0x4925, v124
	v_lshrrev_b32_e32 v252, 17, v124
	v_mul_lo_u16_e32 v124, 28, v252
	v_sub_u16_e32 v124, v161, v124
	v_lshlrev_b32_e32 v253, 4, v124
	v_lshrrev_b16_e32 v124, 2, v160
	v_mul_u32_u24_e32 v124, 0x4925, v124
	v_lshrrev_b32_e32 v254, 17, v124
	v_mul_lo_u16_e32 v124, 28, v254
	v_sub_u16_e32 v124, v160, v124
	global_load_dwordx4 v[198:201], v251, s[12:13] offset:384
	global_load_dwordx4 v[202:205], v253, s[12:13] offset:384
	v_lshlrev_b32_e32 v255, 4, v124
	global_load_dwordx4 v[214:217], v255, s[12:13] offset:384
	s_waitcnt vmcnt(10)
	v_mul_f64 v[124:125], v[114:115], v[208:209]
	v_mul_f64 v[208:209], v[112:113], v[208:209]
	s_waitcnt lgkmcnt(0)
	; wave barrier
	s_waitcnt lgkmcnt(0)
	v_lshlrev_b32_e32 v132, 2, v144
	v_fma_f64 v[112:113], v[112:113], v[206:207], v[124:125]
	s_waitcnt vmcnt(9)
	v_mul_f64 v[124:125], v[118:119], v[212:213]
	v_fma_f64 v[114:115], v[114:115], v[206:207], -v[208:209]
	v_mul_f64 v[206:207], v[116:117], v[212:213]
	v_fma_f64 v[116:117], v[116:117], v[210:211], v[124:125]
	v_fma_f64 v[118:119], v[118:119], v[210:211], -v[206:207]
	s_waitcnt vmcnt(8)
	v_mul_f64 v[124:125], v[106:107], v[130:131]
	s_waitcnt vmcnt(7)
	v_mul_f64 v[208:209], v[110:111], v[142:143]
	v_mul_f64 v[142:143], v[108:109], v[142:143]
	;; [unrolled: 1-line block ×3, first 2 shown]
	v_lshlrev_b32_e32 v131, 2, v150
	v_lshlrev_b32_e32 v130, 2, v158
	v_fma_f64 v[210:211], v[104:105], v[128:129], v[124:125]
	v_fma_f64 v[208:209], v[108:109], v[140:141], v[208:209]
	v_fma_f64 v[140:141], v[110:111], v[140:141], -v[142:143]
	v_fma_f64 v[206:207], v[106:107], v[128:129], -v[206:207]
	v_lshlrev_b32_e32 v129, 2, v157
	s_waitcnt vmcnt(6)
	v_mul_f64 v[104:105], v[98:99], v[184:185]
	s_waitcnt vmcnt(5)
	v_mul_f64 v[108:109], v[102:103], v[188:189]
	v_mul_f64 v[110:111], v[100:101], v[188:189]
	;; [unrolled: 1-line block ×3, first 2 shown]
	v_lshlrev_b32_e32 v125, 2, v155
	v_lshlrev_b32_e32 v124, 2, v154
	v_add_u32_e32 v128, 0x3b8, v144
	v_fma_f64 v[142:143], v[96:97], v[182:183], v[104:105]
	v_fma_f64 v[184:185], v[100:101], v[186:187], v[108:109]
	v_fma_f64 v[186:187], v[102:103], v[186:187], -v[110:111]
	v_fma_f64 v[182:183], v[98:99], v[182:183], -v[106:107]
	s_waitcnt vmcnt(3)
	v_mul_f64 v[101:102], v[94:95], v[196:197]
	v_mul_f64 v[103:104], v[92:93], v[196:197]
	;; [unrolled: 1-line block ×4, first 2 shown]
	v_add_f64 v[105:106], v[44:45], -v[116:117]
	v_mov_b32_e32 v117, 0x380
	v_add_f64 v[107:108], v[46:47], -v[118:119]
	v_cndmask_b32_e64 v117, 0, v117, s[2:3]
	v_fma_f64 v[192:193], v[92:93], v[194:195], v[101:102]
	v_fma_f64 v[194:195], v[94:95], v[194:195], -v[103:104]
	s_waitcnt vmcnt(2)
	v_mul_f64 v[92:93], v[78:79], v[200:201]
	v_mul_f64 v[94:95], v[76:77], v[200:201]
	v_fma_f64 v[188:189], v[88:89], v[190:191], v[97:98]
	s_waitcnt vmcnt(0)
	v_mul_f64 v[101:102], v[82:83], v[216:217]
	v_mul_f64 v[103:104], v[80:81], v[216:217]
	v_fma_f64 v[190:191], v[90:91], v[190:191], -v[99:100]
	v_mul_f64 v[97:98], v[86:87], v[204:205]
	v_mul_f64 v[99:100], v[84:85], v[204:205]
	v_add_f64 v[88:89], v[72:73], -v[234:235]
	v_add_f64 v[90:91], v[74:75], -v[236:237]
	v_fma_f64 v[196:197], v[76:77], v[198:199], v[92:93]
	v_fma_f64 v[198:199], v[78:79], v[198:199], -v[94:95]
	v_add_f64 v[76:77], v[60:61], -v[238:239]
	v_add_f64 v[78:79], v[62:63], -v[240:241]
	v_fma_f64 v[204:205], v[80:81], v[214:215], v[101:102]
	v_fma_f64 v[212:213], v[82:83], v[214:215], -v[103:104]
	;; [unrolled: 4-line block ×3, first 2 shown]
	v_add_f64 v[84:85], v[68:69], -v[220:221]
	v_add_f64 v[86:87], v[70:71], -v[244:245]
	v_fma_f64 v[72:73], v[72:73], 2.0, -v[88:89]
	v_fma_f64 v[74:75], v[74:75], 2.0, -v[90:91]
	v_add_f64 v[92:93], v[56:57], -v[222:223]
	v_add_f64 v[94:95], v[58:59], -v[246:247]
	v_fma_f64 v[60:61], v[60:61], 2.0, -v[76:77]
	v_fma_f64 v[62:63], v[62:63], 2.0, -v[78:79]
	;; [unrolled: 4-line block ×4, first 2 shown]
	v_lshlrev_b32_e32 v118, 4, v168
	v_add3_u32 v117, 0, v117, v118
	v_fma_f64 v[56:57], v[56:57], 2.0, -v[92:93]
	v_fma_f64 v[58:59], v[58:59], 2.0, -v[94:95]
	v_add_f64 v[109:110], v[40:41], -v[210:211]
	v_add_f64 v[111:112], v[42:43], -v[206:207]
	ds_write_b128 v117, v[72:75]
	ds_write_b128 v117, v[88:91] offset:448
	v_mul_u32_u24_sdwa v72, v151, s6 dst_sel:DWORD dst_unused:UNUSED_PAD src0_sel:BYTE_1 src1_sel:DWORD
	v_add3_u32 v72, 0, v72, v159
	v_fma_f64 v[52:53], v[52:53], 2.0, -v[97:98]
	v_fma_f64 v[54:55], v[54:55], 2.0, -v[99:100]
	v_add_f64 v[113:114], v[28:29], -v[208:209]
	v_add_f64 v[115:116], v[30:31], -v[140:141]
	ds_write_b128 v72, v[60:63]
	ds_write_b128 v72, v[76:79] offset:448
	v_mul_u32_u24_sdwa v60, v170, s6 dst_sel:DWORD dst_unused:UNUSED_PAD src0_sel:BYTE_1 src1_sel:DWORD
	;; [unrolled: 8-line block ×3, first 2 shown]
	v_add3_u32 v60, 0, v60, v173
	v_fma_f64 v[44:45], v[44:45], 2.0, -v[105:106]
	v_fma_f64 v[46:47], v[46:47], 2.0, -v[107:108]
	v_add_f64 v[182:183], v[32:33], -v[184:185]
	v_add_f64 v[184:185], v[34:35], -v[186:187]
	ds_write_b128 v60, v[68:71]
	ds_write_b128 v60, v[84:87] offset:448
	v_mul_u32_u24_e32 v60, 0x380, v174
	v_add3_u32 v60, 0, v60, v175
	v_fma_f64 v[40:41], v[40:41], 2.0, -v[109:110]
	v_fma_f64 v[42:43], v[42:43], 2.0, -v[111:112]
	v_add_f64 v[186:187], v[24:25], -v[188:189]
	v_add_f64 v[188:189], v[26:27], -v[190:191]
	ds_write_b128 v60, v[56:59]
	ds_write_b128 v60, v[92:95] offset:448
	v_mul_u32_u24_e32 v56, 0x380, v176
	;; [unrolled: 8-line block ×6, first 2 shown]
	v_add3_u32 v40, 0, v40, v123
	v_fma_f64 v[12:13], v[12:13], 2.0, -v[190:191]
	v_fma_f64 v[14:15], v[14:15], 2.0, -v[192:193]
	ds_write_b128 v40, v[28:31]
	ds_write_b128 v40, v[113:116] offset:448
	v_mul_u32_u24_e32 v28, 0x380, v127
	v_add3_u32 v28, 0, v28, v133
	v_fma_f64 v[20:21], v[20:21], 2.0, -v[194:195]
	v_fma_f64 v[22:23], v[22:23], 2.0, -v[196:197]
	ds_write_b128 v28, v[36:39]
	ds_write_b128 v28, v[140:143] offset:448
	v_mul_u32_u24_e32 v28, 0x380, v134
	;; [unrolled: 6-line block ×4, first 2 shown]
	v_add3_u32 v24, 0, v24, v139
	ds_write_b128 v24, v[12:15]
	ds_write_b128 v24, v[190:193] offset:448
	v_mul_u32_u24_e32 v12, 0x380, v250
	v_add3_u32 v12, 0, v12, v251
	ds_write_b128 v12, v[20:23]
	ds_write_b128 v12, v[194:197] offset:448
	v_mul_u32_u24_e32 v12, 0x380, v252
	;; [unrolled: 4-line block ×3, first 2 shown]
	v_mul_i32_i24_e32 v96, 0xffffffd0, v155
	v_add3_u32 v12, 0, v12, v255
	ds_write_b128 v12, v[8:11]
	ds_write_b128 v12, v[202:205] offset:448
	s_and_saveexec_b64 s[2:3], vcc
	s_cbranch_execz .LBB0_19
; %bb.18:
	v_lshrrev_b16_e32 v8, 2, v128
	v_mul_u32_u24_e32 v8, 0x4925, v8
	v_lshrrev_b32_e32 v8, 17, v8
	v_mul_lo_u16_e32 v8, 28, v8
	v_sub_u16_e32 v8, v128, v8
	v_lshlrev_b32_e32 v14, 4, v8
	global_load_dwordx4 v[8:11], v14, s[12:13] offset:384
	s_waitcnt vmcnt(0)
	v_mul_f64 v[12:13], v[0:1], v[10:11]
	v_mul_f64 v[10:11], v[2:3], v[10:11]
	v_fma_f64 v[2:3], v[2:3], v[8:9], -v[12:13]
	v_fma_f64 v[0:1], v[0:1], v[8:9], v[10:11]
	v_add_u32_e32 v8, 0, v14
	v_add_f64 v[2:3], v[6:7], -v[2:3]
	v_add_f64 v[0:1], v[4:5], -v[0:1]
	v_fma_f64 v[6:7], v[6:7], 2.0, -v[2:3]
	v_fma_f64 v[4:5], v[4:5], 2.0, -v[0:1]
	ds_write_b128 v8, v[4:7] offset:30464
	ds_write_b128 v8, v[0:3] offset:30912
.LBB0_19:
	s_or_b64 exec, exec, s[2:3]
	v_mul_u32_u24_e32 v127, 6, v144
	v_add_u32_e32 v143, v145, v96
	v_lshlrev_b32_e32 v127, 4, v127
	s_waitcnt lgkmcnt(0)
	; wave barrier
	s_waitcnt lgkmcnt(0)
	ds_read_b128 v[16:19], v226
	ds_read_b128 v[133:136], v143
	ds_read_b128 v[137:140], v226 offset:8960
	ds_read_b128 v[182:185], v226 offset:13440
	ds_read_b128 v[188:191], v226 offset:17920
	ds_read_b128 v[120:123], v226 offset:22400
	ds_read_b128 v[116:119], v226 offset:26880
	ds_read_b128 v[12:15], v230
	ds_read_b128 v[112:115], v226 offset:5376
	ds_read_b128 v[108:111], v226 offset:9856
	ds_read_b128 v[104:107], v226 offset:14336
	ds_read_b128 v[100:103], v226 offset:18816
	ds_read_b128 v[96:99], v226 offset:23296
	ds_read_b128 v[92:95], v226 offset:27776
	ds_read_b128 v[8:11], v229
	ds_read_b128 v[88:91], v226 offset:6272
	;; [unrolled: 7-line block ×4, first 2 shown]
	ds_read_b128 v[36:39], v226 offset:12544
	ds_read_b128 v[32:35], v226 offset:17024
	;; [unrolled: 1-line block ×5, first 2 shown]
	global_load_dwordx4 v[200:203], v127, s[12:13] offset:880
	global_load_dwordx4 v[204:207], v127, s[12:13] offset:864
	;; [unrolled: 1-line block ×4, first 2 shown]
	v_mov_b32_e32 v151, 56
	s_mov_b32 s6, 0x37e14327
	s_mov_b32 s2, 0x36b3c0b5
	;; [unrolled: 1-line block ×13, first 2 shown]
	s_waitcnt vmcnt(0) lgkmcnt(14)
	v_mul_f64 v[141:142], v[135:136], v[214:215]
	v_fma_f64 v[172:173], v[133:134], v[212:213], v[141:142]
	v_mul_f64 v[133:134], v[133:134], v[214:215]
	v_fma_f64 v[178:179], v[135:136], v[212:213], -v[133:134]
	v_mul_f64 v[133:134], v[139:140], v[210:211]
	v_fma_f64 v[174:175], v[137:138], v[208:209], v[133:134]
	v_mul_f64 v[133:134], v[137:138], v[210:211]
	v_fma_f64 v[180:181], v[139:140], v[208:209], -v[133:134]
	;; [unrolled: 4-line block ×4, first 2 shown]
	global_load_dwordx4 v[133:136], v127, s[12:13] offset:912
	global_load_dwordx4 v[137:140], v127, s[12:13] offset:896
	s_waitcnt vmcnt(0)
	v_mul_f64 v[141:142], v[122:123], v[139:140]
	v_fma_f64 v[192:193], v[120:121], v[137:138], v[141:142]
	v_mul_f64 v[120:121], v[120:121], v[139:140]
	v_fma_f64 v[194:195], v[122:123], v[137:138], -v[120:121]
	v_mul_f64 v[120:121], v[118:119], v[135:136]
	v_fma_f64 v[196:197], v[116:117], v[133:134], v[120:121]
	v_mul_f64 v[116:117], v[116:117], v[135:136]
	v_fma_f64 v[198:199], v[118:119], v[133:134], -v[116:117]
	;; [unrolled: 4-line block ×8, first 2 shown]
	v_lshrrev_b16_e32 v94, 3, v158
	v_and_b32_e32 v94, 31, v94
	v_mul_lo_u16_e32 v94, 37, v94
	v_mul_lo_u16_sdwa v94, v94, v151 dst_sel:DWORD dst_unused:UNUSED_PAD src0_sel:BYTE_1 src1_sel:DWORD
	v_sub_u16_e32 v94, v158, v94
	v_and_b32_e32 v127, 0xff, v94
	v_mul_u32_u24_e32 v94, 6, v127
	v_lshlrev_b32_e32 v122, 4, v94
	global_load_dwordx4 v[118:121], v122, s[12:13] offset:880
	global_load_dwordx4 v[133:136], v122, s[12:13] offset:864
	;; [unrolled: 1-line block ×4, first 2 shown]
	s_waitcnt vmcnt(0)
	v_mul_f64 v[94:95], v[90:91], v[202:203]
	v_fma_f64 v[94:95], v[88:89], v[200:201], v[94:95]
	v_mul_f64 v[88:89], v[88:89], v[202:203]
	v_fma_f64 v[90:91], v[90:91], v[200:201], -v[88:89]
	v_mul_f64 v[88:89], v[86:87], v[139:140]
	v_fma_f64 v[88:89], v[84:85], v[137:138], v[88:89]
	v_mul_f64 v[84:85], v[84:85], v[139:140]
	v_fma_f64 v[86:87], v[86:87], v[137:138], -v[84:85]
	;; [unrolled: 4-line block ×4, first 2 shown]
	global_load_dwordx4 v[118:121], v122, s[12:13] offset:912
	global_load_dwordx4 v[133:136], v122, s[12:13] offset:896
	s_waitcnt vmcnt(0)
	v_mul_f64 v[78:79], v[74:75], v[135:136]
	v_fma_f64 v[122:123], v[72:73], v[133:134], v[78:79]
	v_mul_f64 v[72:73], v[72:73], v[135:136]
	v_fma_f64 v[135:136], v[74:75], v[133:134], -v[72:73]
	v_mul_f64 v[72:73], v[70:71], v[120:121]
	v_fma_f64 v[137:138], v[68:69], v[118:119], v[72:73]
	v_mul_f64 v[68:69], v[68:69], v[120:121]
	v_fma_f64 v[139:140], v[70:71], v[118:119], -v[68:69]
	v_lshrrev_b16_e32 v68, 3, v157
	v_and_b32_e32 v68, 31, v68
	v_mul_lo_u16_e32 v68, 37, v68
	v_mul_lo_u16_sdwa v68, v68, v151 dst_sel:DWORD dst_unused:UNUSED_PAD src0_sel:BYTE_1 src1_sel:DWORD
	v_sub_u16_e32 v68, v157, v68
	v_and_b32_e32 v145, 0xff, v68
	v_mul_u32_u24_e32 v68, 6, v145
	v_lshlrev_b32_e32 v141, 4, v68
	global_load_dwordx4 v[200:203], v141, s[12:13] offset:880
	global_load_dwordx4 v[118:121], v141, s[12:13] offset:864
	;; [unrolled: 1-line block ×4, first 2 shown]
	s_waitcnt vmcnt(0) lgkmcnt(12)
	v_mul_f64 v[68:69], v[66:67], v[72:73]
	v_fma_f64 v[68:69], v[64:65], v[70:71], v[68:69]
	v_mul_f64 v[64:65], v[64:65], v[72:73]
	v_fma_f64 v[74:75], v[66:67], v[70:71], -v[64:65]
	s_waitcnt lgkmcnt(11)
	v_mul_f64 v[64:65], v[62:63], v[206:207]
	v_add_f64 v[66:67], v[100:101], -v[104:105]
	v_fma_f64 v[70:71], v[60:61], v[204:205], v[64:65]
	v_mul_f64 v[60:61], v[60:61], v[206:207]
	v_add_f64 v[64:65], v[106:107], -v[108:109]
	v_fma_f64 v[78:79], v[62:63], v[204:205], -v[60:61]
	s_waitcnt lgkmcnt(10)
	v_mul_f64 v[60:61], v[58:59], v[120:121]
	v_fma_f64 v[72:73], v[56:57], v[118:119], v[60:61]
	v_mul_f64 v[56:57], v[56:57], v[120:121]
	v_fma_f64 v[118:119], v[58:59], v[118:119], -v[56:57]
	s_waitcnt lgkmcnt(9)
	v_mul_f64 v[56:57], v[54:55], v[202:203]
	v_fma_f64 v[120:121], v[52:53], v[200:201], v[56:57]
	v_mul_f64 v[52:53], v[52:53], v[202:203]
	v_fma_f64 v[133:134], v[54:55], v[200:201], -v[52:53]
	global_load_dwordx4 v[52:55], v141, s[12:13] offset:912
	global_load_dwordx4 v[56:59], v141, s[12:13] offset:896
	s_waitcnt vmcnt(0) lgkmcnt(8)
	v_mul_f64 v[60:61], v[50:51], v[58:59]
	v_fma_f64 v[141:142], v[48:49], v[56:57], v[60:61]
	v_mul_f64 v[48:49], v[48:49], v[58:59]
	v_fma_f64 v[170:171], v[50:51], v[56:57], -v[48:49]
	s_waitcnt lgkmcnt(7)
	v_mul_f64 v[48:49], v[46:47], v[54:55]
	v_fma_f64 v[184:185], v[44:45], v[52:53], v[48:49]
	v_mul_f64 v[44:45], v[44:45], v[54:55]
	v_fma_f64 v[188:189], v[46:47], v[52:53], -v[44:45]
	v_lshrrev_b16_e32 v44, 3, v156
	v_mul_u32_u24_e32 v44, 0x2493, v44
	v_mul_lo_u16_sdwa v44, v44, v151 dst_sel:DWORD dst_unused:UNUSED_PAD src0_sel:WORD_1 src1_sel:DWORD
	v_sub_u16_e32 v151, v156, v44
	v_mul_u32_u24_e32 v44, 6, v151
	v_lshlrev_b32_e32 v62, 4, v44
	global_load_dwordx4 v[44:47], v62, s[12:13] offset:880
	global_load_dwordx4 v[48:51], v62, s[12:13] offset:864
	;; [unrolled: 1-line block ×4, first 2 shown]
	s_waitcnt vmcnt(0) lgkmcnt(5)
	v_mul_f64 v[60:61], v[42:43], v[58:59]
	v_fma_f64 v[200:201], v[40:41], v[56:57], v[60:61]
	v_mul_f64 v[40:41], v[40:41], v[58:59]
	v_fma_f64 v[206:207], v[42:43], v[56:57], -v[40:41]
	s_waitcnt lgkmcnt(4)
	v_mul_f64 v[40:41], v[38:39], v[54:55]
	v_add_f64 v[42:43], v[190:191], -v[182:183]
	v_fma_f64 v[202:203], v[36:37], v[52:53], v[40:41]
	v_mul_f64 v[36:37], v[36:37], v[54:55]
	v_add_f64 v[40:41], v[186:187], -v[176:177]
	v_fma_f64 v[208:209], v[38:39], v[52:53], -v[36:37]
	s_waitcnt lgkmcnt(3)
	v_mul_f64 v[36:37], v[34:35], v[50:51]
	v_add_f64 v[38:39], v[182:183], v[190:191]
	v_fma_f64 v[204:205], v[32:33], v[48:49], v[36:37]
	v_mul_f64 v[32:33], v[32:33], v[50:51]
	v_fma_f64 v[210:211], v[34:35], v[48:49], -v[32:33]
	s_waitcnt lgkmcnt(2)
	v_mul_f64 v[32:33], v[30:31], v[46:47]
	v_fma_f64 v[212:213], v[28:29], v[44:45], v[32:33]
	v_mul_f64 v[28:29], v[28:29], v[46:47]
	v_fma_f64 v[214:215], v[30:31], v[44:45], -v[28:29]
	global_load_dwordx4 v[28:31], v62, s[12:13] offset:912
	global_load_dwordx4 v[32:35], v62, s[12:13] offset:896
	v_add_f64 v[62:63], v[104:105], v[100:101]
	s_waitcnt lgkmcnt(0)
	; wave barrier
	s_waitcnt vmcnt(0) lgkmcnt(0)
	v_mul_f64 v[36:37], v[26:27], v[34:35]
	v_fma_f64 v[216:217], v[24:25], v[32:33], v[36:37]
	v_mul_f64 v[24:25], v[24:25], v[34:35]
	v_add_f64 v[34:35], v[180:181], -v[194:195]
	v_add_f64 v[36:37], v[176:177], v[186:187]
	v_fma_f64 v[218:219], v[26:27], v[32:33], -v[24:25]
	v_mul_f64 v[24:25], v[22:23], v[30:31]
	v_add_f64 v[32:33], v[174:175], -v[192:193]
	v_add_f64 v[26:27], v[178:179], -v[198:199]
	v_add_f64 v[54:55], v[42:43], v[34:35]
	v_add_f64 v[58:59], v[42:43], -v[34:35]
	v_fma_f64 v[220:221], v[20:21], v[28:29], v[24:25]
	v_mul_f64 v[20:21], v[20:21], v[30:31]
	v_add_f64 v[30:31], v[180:181], v[194:195]
	v_add_f64 v[24:25], v[172:173], -v[196:197]
	v_add_f64 v[52:53], v[40:41], v[32:33]
	v_add_f64 v[56:57], v[40:41], -v[32:33]
	v_add_f64 v[42:43], v[26:27], -v[42:43]
	;; [unrolled: 1-line block ×3, first 2 shown]
	v_add_f64 v[26:27], v[54:55], v[26:27]
	v_fma_f64 v[222:223], v[22:23], v[28:29], -v[20:21]
	v_add_f64 v[20:21], v[172:173], v[196:197]
	v_add_f64 v[22:23], v[178:179], v[198:199]
	;; [unrolled: 1-line block ×3, first 2 shown]
	v_add_f64 v[40:41], v[24:25], -v[40:41]
	v_add_f64 v[32:33], v[32:33], -v[24:25]
	v_add_f64 v[24:25], v[52:53], v[24:25]
	v_mul_f64 v[52:53], v[56:57], s[14:15]
	v_mul_f64 v[54:55], v[58:59], s[14:15]
	;; [unrolled: 1-line block ×3, first 2 shown]
	v_add_f64 v[46:47], v[30:31], v[22:23]
	v_add_f64 v[44:45], v[28:29], v[20:21]
	v_add_f64 v[48:49], v[28:29], -v[20:21]
	v_add_f64 v[50:51], v[30:31], -v[22:23]
	;; [unrolled: 1-line block ×6, first 2 shown]
	v_add_f64 v[38:39], v[38:39], v[46:47]
	v_add_f64 v[36:37], v[36:37], v[44:45]
	v_mul_f64 v[56:57], v[32:33], s[8:9]
	v_fma_f64 v[32:33], v[32:33], s[8:9], -v[52:53]
	v_mul_f64 v[20:21], v[20:21], s[6:7]
	v_mul_f64 v[22:23], v[22:23], s[6:7]
	;; [unrolled: 1-line block ×4, first 2 shown]
	v_add_f64 v[18:19], v[18:19], v[38:39]
	v_add_f64 v[16:17], v[16:17], v[36:37]
	v_fma_f64 v[34:35], v[34:35], s[8:9], -v[54:55]
	v_fma_f64 v[32:33], v[24:25], s[18:19], v[32:33]
	v_fma_f64 v[28:29], v[28:29], s[2:3], v[20:21]
	;; [unrolled: 1-line block ×3, first 2 shown]
	v_fma_f64 v[44:45], v[48:49], s[20:21], -v[44:45]
	v_fma_f64 v[46:47], v[50:51], s[20:21], -v[46:47]
	v_fma_f64 v[38:39], v[38:39], s[16:17], v[18:19]
	v_fma_f64 v[36:37], v[36:37], s[16:17], v[16:17]
	v_fma_f64 v[20:21], v[48:49], s[22:23], -v[20:21]
	v_fma_f64 v[22:23], v[50:51], s[22:23], -v[22:23]
	v_fma_f64 v[48:49], v[40:41], s[24:25], v[52:53]
	v_fma_f64 v[50:51], v[42:43], s[24:25], v[54:55]
	v_fma_f64 v[40:41], v[40:41], s[26:27], -v[56:57]
	v_fma_f64 v[42:43], v[42:43], s[26:27], -v[58:59]
	v_add_f64 v[54:55], v[30:31], v[38:39]
	v_add_f64 v[52:53], v[28:29], v[36:37]
	;; [unrolled: 1-line block ×4, first 2 shown]
	v_fma_f64 v[48:49], v[24:25], s[18:19], v[48:49]
	v_fma_f64 v[50:51], v[26:27], s[18:19], v[50:51]
	;; [unrolled: 1-line block ×3, first 2 shown]
	v_add_f64 v[56:57], v[20:21], v[36:37]
	v_add_f64 v[58:59], v[22:23], v[38:39]
	v_fma_f64 v[60:61], v[24:25], s[18:19], v[40:41]
	v_fma_f64 v[40:41], v[26:27], s[18:19], v[42:43]
	v_add_f64 v[30:31], v[32:33], v[46:47]
	v_add_f64 v[22:23], v[54:55], -v[48:49]
	v_add_f64 v[20:21], v[50:51], v[52:53]
	v_add_f64 v[28:29], v[44:45], -v[34:35]
	;; [unrolled: 2-line block ×3, first 2 shown]
	v_add_f64 v[32:33], v[52:53], -v[50:51]
	v_add_f64 v[34:35], v[48:49], v[54:55]
	v_add_f64 v[44:45], v[116:117], v[98:99]
	;; [unrolled: 1-line block ×6, first 2 shown]
	v_add_f64 v[26:27], v[58:59], -v[60:61]
	v_add_f64 v[40:41], v[56:57], -v[40:41]
	v_add_f64 v[42:43], v[60:61], v[58:59]
	v_add_f64 v[50:51], v[114:115], -v[92:93]
	v_add_f64 v[56:57], v[112:113], -v[102:103]
	;; [unrolled: 1-line block ×3, first 2 shown]
	v_add_f64 v[60:61], v[108:109], v[106:107]
	v_add_f64 v[92:93], v[52:53], v[44:45]
	;; [unrolled: 1-line block ×3, first 2 shown]
	v_add_f64 v[48:49], v[116:117], -v[98:99]
	v_add_f64 v[98:99], v[52:53], -v[44:45]
	;; [unrolled: 1-line block ×7, first 2 shown]
	v_add_f64 v[102:103], v[64:65], v[56:57]
	v_add_f64 v[104:105], v[66:67], v[58:59]
	v_add_f64 v[106:107], v[64:65], -v[56:57]
	v_add_f64 v[108:109], v[66:67], -v[58:59]
	v_add_f64 v[60:61], v[60:61], v[92:93]
	v_add_f64 v[62:63], v[62:63], v[96:97]
	v_add_f64 v[64:65], v[48:49], -v[64:65]
	v_add_f64 v[66:67], v[50:51], -v[66:67]
	v_add_f64 v[56:57], v[56:57], -v[48:49]
	v_add_f64 v[58:59], v[58:59], -v[50:51]
	v_add_f64 v[48:49], v[102:103], v[48:49]
	v_add_f64 v[50:51], v[104:105], v[50:51]
	;; [unrolled: 1-line block ×4, first 2 shown]
	v_mul_f64 v[44:45], v[44:45], s[6:7]
	v_mul_f64 v[46:47], v[46:47], s[6:7]
	;; [unrolled: 1-line block ×8, first 2 shown]
	v_fma_f64 v[60:61], v[60:61], s[16:17], v[12:13]
	v_fma_f64 v[62:63], v[62:63], s[16:17], v[14:15]
	;; [unrolled: 1-line block ×4, first 2 shown]
	v_fma_f64 v[92:93], v[98:99], s[20:21], -v[92:93]
	v_fma_f64 v[96:97], v[100:101], s[20:21], -v[96:97]
	;; [unrolled: 1-line block ×4, first 2 shown]
	v_fma_f64 v[98:99], v[64:65], s[24:25], v[102:103]
	v_fma_f64 v[100:101], v[66:67], s[24:25], v[104:105]
	v_fma_f64 v[56:57], v[56:57], s[8:9], -v[102:103]
	v_fma_f64 v[58:59], v[58:59], s[8:9], -v[104:105]
	v_add_f64 v[102:103], v[52:53], v[60:61]
	v_add_f64 v[104:105], v[54:55], v[62:63]
	;; [unrolled: 1-line block ×4, first 2 shown]
	v_fma_f64 v[98:99], v[48:49], s[18:19], v[98:99]
	v_fma_f64 v[100:101], v[50:51], s[18:19], v[100:101]
	;; [unrolled: 1-line block ×4, first 2 shown]
	v_fma_f64 v[64:65], v[64:65], s[26:27], -v[106:107]
	v_fma_f64 v[66:67], v[66:67], s[26:27], -v[108:109]
	v_add_f64 v[106:107], v[44:45], v[60:61]
	v_add_f64 v[108:109], v[46:47], v[62:63]
	v_add_f64 v[46:47], v[104:105], -v[98:99]
	v_add_f64 v[44:45], v[100:101], v[102:103]
	v_add_f64 v[54:55], v[56:57], v[96:97]
	v_add_f64 v[52:53], v[92:93], -v[58:59]
	v_add_f64 v[60:61], v[58:59], v[92:93]
	v_add_f64 v[62:63], v[96:97], -v[56:57]
	v_add_f64 v[56:57], v[102:103], -v[100:101]
	v_add_f64 v[58:59], v[98:99], v[104:105]
	v_add_f64 v[92:93], v[94:95], v[137:138]
	;; [unrolled: 1-line block ×5, first 2 shown]
	v_fma_f64 v[110:111], v[48:49], s[18:19], v[64:65]
	v_fma_f64 v[64:65], v[50:51], s[18:19], v[66:67]
	v_add_f64 v[94:95], v[94:95], -v[137:138]
	v_add_f64 v[90:91], v[90:91], -v[139:140]
	;; [unrolled: 1-line block ×4, first 2 shown]
	v_add_f64 v[102:103], v[84:85], v[82:83]
	v_add_f64 v[104:105], v[80:81], v[76:77]
	v_add_f64 v[82:83], v[82:83], -v[84:85]
	v_add_f64 v[76:77], v[76:77], -v[80:81]
	v_add_f64 v[80:81], v[98:99], v[92:93]
	v_add_f64 v[84:85], v[100:101], v[96:97]
	;; [unrolled: 1-line block ×3, first 2 shown]
	v_add_f64 v[50:51], v[108:109], -v[110:111]
	v_add_f64 v[64:65], v[106:107], -v[64:65]
	v_add_f64 v[66:67], v[110:111], v[108:109]
	v_add_f64 v[106:107], v[98:99], -v[92:93]
	v_add_f64 v[108:109], v[100:101], -v[96:97]
	;; [unrolled: 1-line block ×6, first 2 shown]
	v_add_f64 v[110:111], v[82:83], v[88:89]
	v_add_f64 v[112:113], v[76:77], v[86:87]
	v_add_f64 v[114:115], v[82:83], -v[88:89]
	v_add_f64 v[116:117], v[76:77], -v[86:87]
	;; [unrolled: 1-line block ×4, first 2 shown]
	v_add_f64 v[80:81], v[102:103], v[80:81]
	v_add_f64 v[84:85], v[104:105], v[84:85]
	v_add_f64 v[82:83], v[94:95], -v[82:83]
	v_add_f64 v[76:77], v[90:91], -v[76:77]
	v_add_f64 v[94:95], v[110:111], v[94:95]
	v_add_f64 v[90:91], v[112:113], v[90:91]
	v_mul_f64 v[92:93], v[92:93], s[6:7]
	v_mul_f64 v[96:97], v[96:97], s[6:7]
	v_add_f64 v[8:9], v[8:9], v[80:81]
	v_add_f64 v[10:11], v[10:11], v[84:85]
	v_mul_f64 v[102:103], v[98:99], s[2:3]
	v_mul_f64 v[104:105], v[100:101], s[2:3]
	;; [unrolled: 1-line block ×6, first 2 shown]
	v_fma_f64 v[80:81], v[80:81], s[16:17], v[8:9]
	v_fma_f64 v[84:85], v[84:85], s[16:17], v[10:11]
	;; [unrolled: 1-line block ×4, first 2 shown]
	v_fma_f64 v[102:103], v[106:107], s[20:21], -v[102:103]
	v_fma_f64 v[104:105], v[108:109], s[20:21], -v[104:105]
	;; [unrolled: 1-line block ×4, first 2 shown]
	v_fma_f64 v[106:107], v[82:83], s[24:25], v[110:111]
	v_fma_f64 v[108:109], v[76:77], s[24:25], v[112:113]
	v_fma_f64 v[88:89], v[88:89], s[8:9], -v[110:111]
	v_fma_f64 v[86:87], v[86:87], s[8:9], -v[112:113]
	;; [unrolled: 1-line block ×4, first 2 shown]
	v_add_f64 v[110:111], v[98:99], v[80:81]
	v_add_f64 v[112:113], v[100:101], v[84:85]
	;; [unrolled: 1-line block ×6, first 2 shown]
	v_fma_f64 v[106:107], v[94:95], s[18:19], v[106:107]
	v_fma_f64 v[108:109], v[90:91], s[18:19], v[108:109]
	;; [unrolled: 1-line block ×6, first 2 shown]
	v_add_f64 v[172:173], v[212:213], -v[204:205]
	v_add_f64 v[174:175], v[214:215], -v[210:211]
	;; [unrolled: 1-line block ×3, first 2 shown]
	v_add_f64 v[80:81], v[108:109], v[110:111]
	v_add_f64 v[90:91], v[96:97], v[100:101]
	v_add_f64 v[88:89], v[98:99], -v[92:93]
	v_add_f64 v[86:87], v[104:105], -v[114:115]
	v_add_f64 v[84:85], v[76:77], v[102:103]
	v_add_f64 v[92:93], v[92:93], v[98:99]
	v_add_f64 v[94:95], v[100:101], -v[96:97]
	v_add_f64 v[96:97], v[102:103], -v[76:77]
	v_add_f64 v[98:99], v[114:115], v[104:105]
	v_add_f64 v[100:101], v[110:111], -v[108:109]
	v_add_f64 v[102:103], v[106:107], v[112:113]
	v_add_f64 v[76:77], v[68:69], v[184:185]
	;; [unrolled: 1-line block ×5, first 2 shown]
	v_add_f64 v[68:69], v[68:69], -v[184:185]
	v_add_f64 v[74:75], v[74:75], -v[188:189]
	;; [unrolled: 1-line block ×4, first 2 shown]
	v_add_f64 v[110:111], v[72:73], v[120:121]
	v_add_f64 v[112:113], v[118:119], v[133:134]
	v_add_f64 v[72:73], v[120:121], -v[72:73]
	v_add_f64 v[114:115], v[133:134], -v[118:119]
	v_add_f64 v[116:117], v[106:107], v[76:77]
	v_add_f64 v[118:119], v[108:109], v[104:105]
	v_add_f64 v[120:121], v[106:107], -v[76:77]
	v_add_f64 v[122:123], v[108:109], -v[104:105]
	;; [unrolled: 1-line block ×6, first 2 shown]
	v_add_f64 v[133:134], v[72:73], v[70:71]
	v_add_f64 v[135:136], v[114:115], v[78:79]
	v_add_f64 v[137:138], v[72:73], -v[70:71]
	v_add_f64 v[139:140], v[114:115], -v[78:79]
	;; [unrolled: 1-line block ×4, first 2 shown]
	v_add_f64 v[110:111], v[110:111], v[116:117]
	v_add_f64 v[112:113], v[112:113], v[118:119]
	v_add_f64 v[72:73], v[68:69], -v[72:73]
	v_add_f64 v[114:115], v[74:75], -v[114:115]
	v_add_f64 v[68:69], v[133:134], v[68:69]
	v_add_f64 v[74:75], v[135:136], v[74:75]
	v_mul_f64 v[76:77], v[76:77], s[6:7]
	v_mul_f64 v[104:105], v[104:105], s[6:7]
	v_add_f64 v[4:5], v[4:5], v[110:111]
	v_add_f64 v[6:7], v[6:7], v[112:113]
	v_mul_f64 v[116:117], v[106:107], s[2:3]
	v_mul_f64 v[118:119], v[108:109], s[2:3]
	;; [unrolled: 1-line block ×6, first 2 shown]
	v_fma_f64 v[110:111], v[110:111], s[16:17], v[4:5]
	v_fma_f64 v[112:113], v[112:113], s[16:17], v[6:7]
	;; [unrolled: 1-line block ×4, first 2 shown]
	v_fma_f64 v[116:117], v[120:121], s[20:21], -v[116:117]
	v_fma_f64 v[118:119], v[122:123], s[20:21], -v[118:119]
	;; [unrolled: 1-line block ×4, first 2 shown]
	v_fma_f64 v[120:121], v[72:73], s[24:25], v[133:134]
	v_fma_f64 v[122:123], v[114:115], s[24:25], v[135:136]
	v_fma_f64 v[70:71], v[70:71], s[8:9], -v[133:134]
	v_fma_f64 v[78:79], v[78:79], s[8:9], -v[135:136]
	;; [unrolled: 1-line block ×4, first 2 shown]
	v_add_f64 v[133:134], v[106:107], v[110:111]
	v_add_f64 v[135:136], v[108:109], v[112:113]
	;; [unrolled: 1-line block ×6, first 2 shown]
	v_fma_f64 v[116:117], v[68:69], s[18:19], v[120:121]
	v_fma_f64 v[118:119], v[74:75], s[18:19], v[122:123]
	;; [unrolled: 1-line block ×6, first 2 shown]
	v_add_f64 v[137:138], v[202:203], -v[216:217]
	v_add_f64 v[139:140], v[208:209], -v[218:219]
	;; [unrolled: 1-line block ×3, first 2 shown]
	v_add_f64 v[68:69], v[118:119], v[133:134]
	v_add_f64 v[78:79], v[120:121], v[108:109]
	v_add_f64 v[76:77], v[106:107], -v[104:105]
	v_add_f64 v[74:75], v[112:113], -v[122:123]
	v_add_f64 v[72:73], v[114:115], v[110:111]
	v_add_f64 v[104:105], v[104:105], v[106:107]
	v_add_f64 v[106:107], v[108:109], -v[120:121]
	v_add_f64 v[108:109], v[110:111], -v[114:115]
	v_add_f64 v[110:111], v[122:123], v[112:113]
	v_add_f64 v[112:113], v[133:134], -v[118:119]
	v_add_f64 v[114:115], v[116:117], v[135:136]
	v_add_f64 v[116:117], v[200:201], v[220:221]
	;; [unrolled: 1-line block ×7, first 2 shown]
	v_add_f64 v[120:121], v[200:201], -v[220:221]
	v_add_f64 v[122:123], v[206:207], -v[222:223]
	v_add_f64 v[184:185], v[172:173], v[137:138]
	v_add_f64 v[186:187], v[174:175], v[139:140]
	;; [unrolled: 1-line block ×4, first 2 shown]
	v_add_f64 v[180:181], v[133:134], -v[116:117]
	v_add_f64 v[182:183], v[135:136], -v[118:119]
	;; [unrolled: 1-line block ×8, first 2 shown]
	v_add_f64 v[141:142], v[141:142], v[176:177]
	v_add_f64 v[170:171], v[170:171], v[178:179]
	v_add_f64 v[137:138], v[137:138], -v[120:121]
	v_add_f64 v[139:140], v[139:140], -v[122:123]
	;; [unrolled: 1-line block ×4, first 2 shown]
	v_add_f64 v[120:121], v[184:185], v[120:121]
	v_add_f64 v[122:123], v[186:187], v[122:123]
	;; [unrolled: 1-line block ×4, first 2 shown]
	v_mul_f64 v[116:117], v[116:117], s[6:7]
	v_mul_f64 v[118:119], v[118:119], s[6:7]
	;; [unrolled: 1-line block ×8, first 2 shown]
	v_fma_f64 v[141:142], v[141:142], s[16:17], v[0:1]
	v_fma_f64 v[170:171], v[170:171], s[16:17], v[2:3]
	;; [unrolled: 1-line block ×4, first 2 shown]
	v_fma_f64 v[176:177], v[180:181], s[20:21], -v[176:177]
	v_fma_f64 v[178:179], v[182:183], s[20:21], -v[178:179]
	;; [unrolled: 1-line block ×4, first 2 shown]
	v_fma_f64 v[180:181], v[172:173], s[24:25], v[184:185]
	v_fma_f64 v[182:183], v[174:175], s[24:25], v[186:187]
	v_fma_f64 v[172:173], v[172:173], s[26:27], -v[188:189]
	v_fma_f64 v[174:175], v[174:175], s[26:27], -v[190:191]
	v_fma_f64 v[137:138], v[137:138], s[8:9], -v[184:185]
	v_fma_f64 v[139:140], v[139:140], s[8:9], -v[186:187]
	v_add_f64 v[184:185], v[133:134], v[141:142]
	v_add_f64 v[186:187], v[135:136], v[170:171]
	v_fma_f64 v[180:181], v[120:121], s[18:19], v[180:181]
	v_fma_f64 v[182:183], v[122:123], s[18:19], v[182:183]
	v_add_f64 v[176:177], v[176:177], v[141:142]
	v_add_f64 v[141:142], v[116:117], v[141:142]
	v_add_f64 v[188:189], v[118:119], v[170:171]
	v_fma_f64 v[172:173], v[120:121], s[18:19], v[172:173]
	v_fma_f64 v[174:175], v[122:123], s[18:19], v[174:175]
	v_add_f64 v[178:179], v[178:179], v[170:171]
	v_fma_f64 v[170:171], v[120:121], s[18:19], v[137:138]
	v_fma_f64 v[137:138], v[122:123], s[18:19], v[139:140]
	v_add_f64 v[116:117], v[182:183], v[184:185]
	v_add_f64 v[118:119], v[186:187], -v[180:181]
	ds_write_b128 v226, v[16:19]
	ds_write_b128 v226, v[20:23] offset:896
	ds_write_b128 v226, v[24:27] offset:1792
	;; [unrolled: 1-line block ×7, first 2 shown]
	ds_write_b128 v231, v[44:47]
	ds_write_b128 v226, v[48:51] offset:8064
	ds_write_b128 v226, v[52:55] offset:8960
	;; [unrolled: 1-line block ×5, first 2 shown]
	v_add_f64 v[122:123], v[188:189], -v[172:173]
	v_add_f64 v[120:121], v[174:175], v[141:142]
	v_add_f64 v[172:173], v[172:173], v[188:189]
	;; [unrolled: 1-line block ×3, first 2 shown]
	v_add_f64 v[133:134], v[176:177], -v[137:138]
	v_add_f64 v[137:138], v[137:138], v[176:177]
	v_add_f64 v[139:140], v[178:179], -v[170:171]
	v_add_f64 v[170:171], v[141:142], -v[174:175]
	v_lshl_add_u32 v12, v127, 4, 0
	v_add_f64 v[174:175], v[184:185], -v[182:183]
	v_add_f64 v[176:177], v[180:181], v[186:187]
	ds_write_b128 v12, v[8:11] offset:12544
	ds_write_b128 v12, v[80:83] offset:13440
	;; [unrolled: 1-line block ×7, first 2 shown]
	v_lshl_add_u32 v8, v145, 4, 0
	ds_write_b128 v8, v[4:7] offset:18816
	ds_write_b128 v8, v[68:71] offset:19712
	;; [unrolled: 1-line block ×7, first 2 shown]
	v_lshl_add_u32 v4, v151, 4, 0
	ds_write_b128 v4, v[0:3] offset:25088
	ds_write_b128 v4, v[116:119] offset:25984
	;; [unrolled: 1-line block ×7, first 2 shown]
	v_mov_b32_e32 v133, v169
	v_lshlrev_b64 v[178:179], 4, v[132:133]
	v_mov_b32_e32 v133, s13
	v_add_co_u32_e64 v127, s[2:3], s12, v178
	v_addc_co_u32_e64 v132, s[2:3], v133, v179, s[2:3]
	s_movk_i32 s7, 0x1840
	v_add_co_u32_e64 v190, s[2:3], s7, v127
	v_addc_co_u32_e64 v191, s[2:3], 0, v132, s[2:3]
	s_movk_i32 s6, 0x1000
	v_add_co_u32_e64 v178, s[2:3], s6, v127
	v_addc_co_u32_e64 v179, s[2:3], 0, v132, s[2:3]
	s_waitcnt lgkmcnt(0)
	; wave barrier
	s_waitcnt lgkmcnt(0)
	ds_read_b128 v[32:35], v226
	ds_read_b128 v[134:137], v232
	ds_read_b128 v[138:141], v226 offset:12544
	ds_read_b128 v[170:173], v226 offset:18816
	ds_read_b128 v[174:177], v226 offset:25088
	ds_read_b128 v[40:43], v230
	ds_read_b128 v[120:123], v226 offset:7168
	ds_read_b128 v[116:119], v226 offset:13440
	ds_read_b128 v[112:115], v226 offset:19712
	ds_read_b128 v[108:111], v226 offset:25984
	ds_read_b128 v[16:19], v229
	ds_read_b128 v[104:107], v226 offset:8064
	ds_read_b128 v[100:103], v226 offset:14336
	ds_read_b128 v[96:99], v226 offset:20608
	ds_read_b128 v[92:95], v226 offset:26880
	ds_read_b128 v[12:15], v228
	ds_read_b128 v[88:91], v226 offset:8960
	ds_read_b128 v[84:87], v226 offset:15232
	ds_read_b128 v[80:83], v226 offset:21504
	ds_read_b128 v[76:79], v226 offset:27776
	ds_read_b128 v[8:11], v227
	ds_read_b128 v[72:75], v226 offset:9856
	ds_read_b128 v[68:71], v226 offset:16128
	ds_read_b128 v[64:67], v226 offset:22400
	ds_read_b128 v[60:63], v226 offset:28672
	ds_read_b128 v[4:7], v143
	ds_read_b128 v[56:59], v226 offset:10752
	ds_read_b128 v[52:55], v226 offset:17024
	ds_read_b128 v[48:51], v226 offset:23296
	ds_read_b128 v[44:47], v226 offset:29568
	ds_read_b128 v[0:3], v233
	ds_read_b128 v[36:39], v226 offset:11648
	ds_read_b128 v[28:31], v226 offset:17920
	ds_read_b128 v[24:27], v226 offset:24192
	;; [unrolled: 1-line block ×3, first 2 shown]
	global_load_dwordx4 v[178:181], v[178:179], off offset:2112
	s_nop 0
	global_load_dwordx4 v[182:185], v[190:191], off offset:48
	global_load_dwordx4 v[186:189], v[190:191], off offset:32
	s_nop 0
	global_load_dwordx4 v[190:193], v[190:191], off offset:16
	v_mov_b32_e32 v132, v169
	v_lshlrev_b64 v[131:132], 4, v[131:132]
	s_mov_b32 s14, 0x134454ff
	v_add_co_u32_e64 v127, s[2:3], s12, v131
	s_mov_b32 s15, 0xbfee6f0e
	s_mov_b32 s9, 0x3fee6f0e
	;; [unrolled: 1-line block ×4, first 2 shown]
	s_waitcnt vmcnt(3) lgkmcnt(14)
	v_mul_f64 v[194:195], v[136:137], v[180:181]
	v_fma_f64 v[218:219], v[134:135], v[178:179], v[194:195]
	v_mul_f64 v[134:135], v[134:135], v[180:181]
	v_fma_f64 v[202:203], v[136:137], v[178:179], -v[134:135]
	s_waitcnt vmcnt(0)
	v_mul_f64 v[134:135], v[140:141], v[192:193]
	v_fma_f64 v[220:221], v[138:139], v[190:191], v[134:135]
	v_mul_f64 v[134:135], v[138:139], v[192:193]
	v_fma_f64 v[204:205], v[140:141], v[190:191], -v[134:135]
	v_mul_f64 v[134:135], v[172:173], v[188:189]
	v_fma_f64 v[222:223], v[170:171], v[186:187], v[134:135]
	v_mul_f64 v[134:135], v[170:171], v[188:189]
	v_fma_f64 v[206:207], v[172:173], v[186:187], -v[134:135]
	;; [unrolled: 4-line block ×3, first 2 shown]
	v_addc_co_u32_e64 v135, s[2:3], v133, v132, s[2:3]
	v_add_co_u32_e64 v131, s[2:3], s7, v127
	v_addc_co_u32_e64 v132, s[2:3], 0, v135, s[2:3]
	v_add_co_u32_e64 v134, s[2:3], s6, v127
	v_addc_co_u32_e64 v135, s[2:3], 0, v135, s[2:3]
	global_load_dwordx4 v[134:137], v[134:135], off offset:2112
	s_nop 0
	global_load_dwordx4 v[138:141], v[131:132], off offset:48
	global_load_dwordx4 v[170:173], v[131:132], off offset:32
	;; [unrolled: 1-line block ×3, first 2 shown]
	v_mov_b32_e32 v127, v169
	s_waitcnt vmcnt(3)
	v_mul_f64 v[131:132], v[122:123], v[136:137]
	v_fma_f64 v[210:211], v[120:121], v[134:135], v[131:132]
	v_mul_f64 v[120:121], v[120:121], v[136:137]
	v_mov_b32_e32 v131, v169
	v_fma_f64 v[194:195], v[122:123], v[134:135], -v[120:121]
	s_waitcnt vmcnt(0)
	v_mul_f64 v[120:121], v[118:119], v[176:177]
	v_fma_f64 v[212:213], v[116:117], v[174:175], v[120:121]
	v_mul_f64 v[116:117], v[116:117], v[176:177]
	v_fma_f64 v[196:197], v[118:119], v[174:175], -v[116:117]
	v_mul_f64 v[116:117], v[114:115], v[172:173]
	v_fma_f64 v[214:215], v[112:113], v[170:171], v[116:117]
	v_mul_f64 v[112:113], v[112:113], v[172:173]
	v_fma_f64 v[198:199], v[114:115], v[170:171], -v[112:113]
	;; [unrolled: 4-line block ×3, first 2 shown]
	v_lshlrev_b64 v[108:109], 4, v[130:131]
	v_add_co_u32_e64 v108, s[2:3], s12, v108
	v_addc_co_u32_e64 v109, s[2:3], v133, v109, s[2:3]
	v_add_co_u32_e64 v120, s[2:3], s7, v108
	v_addc_co_u32_e64 v121, s[2:3], 0, v109, s[2:3]
	;; [unrolled: 2-line block ×3, first 2 shown]
	global_load_dwordx4 v[108:111], v[108:109], off offset:2112
	s_nop 0
	global_load_dwordx4 v[112:115], v[120:121], off offset:48
	global_load_dwordx4 v[116:119], v[120:121], off offset:32
	s_nop 0
	global_load_dwordx4 v[120:123], v[120:121], off offset:16
	s_waitcnt vmcnt(3)
	v_mul_f64 v[130:131], v[106:107], v[110:111]
	v_fma_f64 v[186:187], v[104:105], v[108:109], v[130:131]
	v_mul_f64 v[104:105], v[104:105], v[110:111]
	v_mov_b32_e32 v130, v169
	v_fma_f64 v[178:179], v[106:107], v[108:109], -v[104:105]
	s_waitcnt vmcnt(0)
	v_mul_f64 v[104:105], v[102:103], v[122:123]
	v_fma_f64 v[188:189], v[100:101], v[120:121], v[104:105]
	v_mul_f64 v[100:101], v[100:101], v[122:123]
	v_fma_f64 v[180:181], v[102:103], v[120:121], -v[100:101]
	v_mul_f64 v[100:101], v[98:99], v[118:119]
	v_fma_f64 v[190:191], v[96:97], v[116:117], v[100:101]
	v_mul_f64 v[96:97], v[96:97], v[118:119]
	v_fma_f64 v[182:183], v[98:99], v[116:117], -v[96:97]
	v_mul_f64 v[96:97], v[94:95], v[114:115]
	v_fma_f64 v[192:193], v[92:93], v[112:113], v[96:97]
	v_mul_f64 v[92:93], v[92:93], v[114:115]
	v_fma_f64 v[184:185], v[94:95], v[112:113], -v[92:93]
	v_lshlrev_b64 v[92:93], 4, v[129:130]
	v_add_co_u32_e64 v92, s[2:3], s12, v92
	v_addc_co_u32_e64 v93, s[2:3], v133, v93, s[2:3]
	v_add_co_u32_e64 v100, s[2:3], s7, v92
	v_addc_co_u32_e64 v101, s[2:3], 0, v93, s[2:3]
	;; [unrolled: 2-line block ×3, first 2 shown]
	global_load_dwordx4 v[92:95], v[92:93], off offset:2112
	s_nop 0
	global_load_dwordx4 v[96:99], v[100:101], off offset:48
	global_load_dwordx4 v[106:109], v[100:101], off offset:32
	;; [unrolled: 1-line block ×3, first 2 shown]
	s_waitcnt vmcnt(3)
	v_mul_f64 v[100:101], v[90:91], v[94:95]
	v_fma_f64 v[100:101], v[88:89], v[92:93], v[100:101]
	v_mul_f64 v[88:89], v[88:89], v[94:95]
	v_fma_f64 v[90:91], v[90:91], v[92:93], -v[88:89]
	s_waitcnt vmcnt(0)
	v_mul_f64 v[88:89], v[86:87], v[112:113]
	v_fma_f64 v[104:105], v[84:85], v[110:111], v[88:89]
	v_mul_f64 v[84:85], v[84:85], v[112:113]
	v_fma_f64 v[92:93], v[86:87], v[110:111], -v[84:85]
	v_mul_f64 v[84:85], v[82:83], v[108:109]
	v_fma_f64 v[86:87], v[80:81], v[106:107], v[84:85]
	v_mul_f64 v[80:81], v[80:81], v[108:109]
	v_add_f64 v[84:85], v[182:183], -v[184:185]
	v_fma_f64 v[94:95], v[82:83], v[106:107], -v[80:81]
	v_mul_f64 v[80:81], v[78:79], v[98:99]
	v_fma_f64 v[82:83], v[76:77], v[96:97], v[80:81]
	v_mul_f64 v[76:77], v[76:77], v[98:99]
	v_add_f64 v[88:89], v[82:83], -v[86:87]
	v_fma_f64 v[96:97], v[78:79], v[96:97], -v[76:77]
	v_lshlrev_b64 v[76:77], 4, v[126:127]
	v_mov_b32_e32 v126, v169
	v_add_co_u32_e64 v76, s[2:3], s12, v76
	v_addc_co_u32_e64 v77, s[2:3], v133, v77, s[2:3]
	v_add_co_u32_e64 v80, s[2:3], s7, v76
	v_addc_co_u32_e64 v81, s[2:3], 0, v77, s[2:3]
	;; [unrolled: 2-line block ×3, first 2 shown]
	global_load_dwordx4 v[76:79], v[76:77], off offset:2112
	s_nop 0
	global_load_dwordx4 v[112:115], v[80:81], off offset:48
	global_load_dwordx4 v[118:121], v[80:81], off offset:32
	;; [unrolled: 1-line block ×3, first 2 shown]
	s_waitcnt vmcnt(3) lgkmcnt(13)
	v_mul_f64 v[80:81], v[74:75], v[78:79]
	v_fma_f64 v[98:99], v[72:73], v[76:77], v[80:81]
	v_mul_f64 v[72:73], v[72:73], v[78:79]
	v_add_f64 v[78:79], v[188:189], -v[190:191]
	v_add_f64 v[80:81], v[184:185], -v[182:183]
	v_fma_f64 v[106:107], v[74:75], v[76:77], -v[72:73]
	s_waitcnt vmcnt(0) lgkmcnt(12)
	v_mul_f64 v[72:73], v[70:71], v[110:111]
	v_fma_f64 v[102:103], v[68:69], v[108:109], v[72:73]
	v_mul_f64 v[68:69], v[68:69], v[110:111]
	v_fma_f64 v[108:109], v[70:71], v[108:109], -v[68:69]
	s_waitcnt lgkmcnt(11)
	v_mul_f64 v[68:69], v[66:67], v[120:121]
	v_fma_f64 v[116:117], v[64:65], v[118:119], v[68:69]
	v_mul_f64 v[64:65], v[64:65], v[120:121]
	v_fma_f64 v[110:111], v[66:67], v[118:119], -v[64:65]
	s_waitcnt lgkmcnt(10)
	v_mul_f64 v[64:65], v[62:63], v[114:115]
	v_fma_f64 v[120:121], v[60:61], v[112:113], v[64:65]
	v_mul_f64 v[60:61], v[60:61], v[114:115]
	v_fma_f64 v[112:113], v[62:63], v[112:113], -v[60:61]
	v_lshlrev_b64 v[60:61], 4, v[125:126]
	v_mov_b32_e32 v125, v169
	v_add_co_u32_e64 v60, s[2:3], s12, v60
	v_addc_co_u32_e64 v61, s[2:3], v133, v61, s[2:3]
	v_add_co_u32_e64 v72, s[2:3], s7, v60
	v_addc_co_u32_e64 v73, s[2:3], 0, v61, s[2:3]
	;; [unrolled: 2-line block ×3, first 2 shown]
	global_load_dwordx4 v[60:63], v[60:61], off offset:2112
	s_nop 0
	global_load_dwordx4 v[64:67], v[72:73], off offset:48
	global_load_dwordx4 v[68:71], v[72:73], off offset:32
	s_nop 0
	global_load_dwordx4 v[72:75], v[72:73], off offset:16
	s_waitcnt vmcnt(3) lgkmcnt(8)
	v_mul_f64 v[76:77], v[58:59], v[62:63]
	v_fma_f64 v[114:115], v[56:57], v[60:61], v[76:77]
	v_mul_f64 v[56:57], v[56:57], v[62:63]
	v_add_f64 v[62:63], v[212:213], -v[214:215]
	v_add_f64 v[76:77], v[186:187], -v[192:193]
	v_fma_f64 v[122:123], v[58:59], v[60:61], -v[56:57]
	s_waitcnt vmcnt(0) lgkmcnt(7)
	v_mul_f64 v[56:57], v[54:55], v[74:75]
	v_fma_f64 v[118:119], v[52:53], v[72:73], v[56:57]
	v_mul_f64 v[52:53], v[52:53], v[74:75]
	v_add_f64 v[74:75], v[190:191], -v[192:193]
	v_fma_f64 v[126:127], v[54:55], v[72:73], -v[52:53]
	s_waitcnt lgkmcnt(6)
	v_mul_f64 v[52:53], v[50:51], v[70:71]
	v_add_f64 v[72:73], v[192:193], -v[190:191]
	v_fma_f64 v[141:142], v[48:49], v[68:69], v[52:53]
	v_mul_f64 v[48:49], v[48:49], v[70:71]
	v_add_f64 v[70:71], v[180:181], -v[182:183]
	v_fma_f64 v[129:130], v[50:51], v[68:69], -v[48:49]
	s_waitcnt lgkmcnt(5)
	v_mul_f64 v[48:49], v[46:47], v[66:67]
	v_add_f64 v[68:69], v[186:187], -v[188:189]
	v_fma_f64 v[170:171], v[44:45], v[64:65], v[48:49]
	v_mul_f64 v[44:45], v[44:45], v[66:67]
	v_add_f64 v[66:67], v[198:199], -v[200:201]
	v_add_f64 v[72:73], v[68:69], v[72:73]
	v_fma_f64 v[131:132], v[46:47], v[64:65], -v[44:45]
	v_lshlrev_b64 v[44:45], 4, v[124:125]
	v_add_f64 v[64:65], v[200:201], -v[198:199]
	v_add_co_u32_e64 v44, s[2:3], s12, v44
	v_addc_co_u32_e64 v45, s[2:3], v133, v45, s[2:3]
	v_add_co_u32_e64 v56, s[2:3], s7, v44
	v_addc_co_u32_e64 v57, s[2:3], 0, v45, s[2:3]
	;; [unrolled: 2-line block ×3, first 2 shown]
	global_load_dwordx4 v[44:47], v[44:45], off offset:2112
	s_nop 0
	global_load_dwordx4 v[48:51], v[56:57], off offset:48
	global_load_dwordx4 v[52:55], v[56:57], off offset:32
	s_nop 0
	global_load_dwordx4 v[56:59], v[56:57], off offset:16
	s_mov_b32 s6, 0x4755a5e
	s_mov_b32 s7, 0xbfe2cf23
	;; [unrolled: 1-line block ×5, first 2 shown]
	v_add_f64 v[124:125], v[90:91], -v[96:97]
	s_waitcnt lgkmcnt(0)
	; wave barrier
	s_waitcnt vmcnt(3) lgkmcnt(0)
	v_mul_f64 v[60:61], v[38:39], v[46:47]
	v_fma_f64 v[168:169], v[36:37], v[44:45], v[60:61]
	v_mul_f64 v[36:37], v[36:37], v[46:47]
	v_add_f64 v[46:47], v[220:221], -v[222:223]
	v_add_f64 v[60:61], v[210:211], -v[216:217]
	v_fma_f64 v[133:134], v[38:39], v[44:45], -v[36:37]
	s_waitcnt vmcnt(0)
	v_mul_f64 v[36:37], v[30:31], v[58:59]
	v_add_f64 v[38:39], v[222:223], -v[224:225]
	v_add_f64 v[44:45], v[218:219], -v[224:225]
	v_fma_f64 v[172:173], v[28:29], v[56:57], v[36:37]
	v_mul_f64 v[28:29], v[28:29], v[58:59]
	v_add_f64 v[36:37], v[224:225], -v[222:223]
	v_add_f64 v[58:59], v[214:215], -v[216:217]
	v_fma_f64 v[135:136], v[30:31], v[56:57], -v[28:29]
	v_mul_f64 v[28:29], v[26:27], v[54:55]
	v_add_f64 v[30:31], v[204:205], -v[206:207]
	v_add_f64 v[56:57], v[216:217], -v[214:215]
	v_fma_f64 v[174:175], v[24:25], v[52:53], v[28:29]
	v_mul_f64 v[24:25], v[24:25], v[54:55]
	v_add_f64 v[28:29], v[218:219], -v[220:221]
	v_add_f64 v[54:55], v[196:197], -v[198:199]
	v_fma_f64 v[137:138], v[26:27], v[52:53], -v[24:25]
	v_mul_f64 v[24:25], v[22:23], v[50:51]
	v_add_f64 v[26:27], v[202:203], -v[208:209]
	v_add_f64 v[36:37], v[28:29], v[36:37]
	v_add_f64 v[52:53], v[210:211], -v[212:213]
	v_fma_f64 v[176:177], v[20:21], v[48:49], v[24:25]
	v_mul_f64 v[20:21], v[20:21], v[50:51]
	v_add_f64 v[50:51], v[206:207], -v[208:209]
	v_add_f64 v[56:57], v[52:53], v[56:57]
	v_fma_f64 v[139:140], v[22:23], v[48:49], -v[20:21]
	v_add_f64 v[22:23], v[220:221], v[222:223]
	v_add_f64 v[20:21], v[32:33], v[218:219]
	v_add_f64 v[48:49], v[208:209], -v[206:207]
	v_fma_f64 v[22:23], v[22:23], -0.5, v[32:33]
	v_add_f64 v[20:21], v[20:21], v[220:221]
	v_fma_f64 v[24:25], v[26:27], s[14:15], v[22:23]
	v_fma_f64 v[22:23], v[26:27], s[8:9], v[22:23]
	v_add_f64 v[20:21], v[20:21], v[222:223]
	v_fma_f64 v[24:25], v[30:31], s[6:7], v[24:25]
	v_fma_f64 v[22:23], v[30:31], s[16:17], v[22:23]
	;; [unrolled: 3-line block ×3, first 2 shown]
	v_add_f64 v[22:23], v[218:219], v[224:225]
	v_add_f64 v[36:37], v[220:221], -v[218:219]
	v_fma_f64 v[22:23], v[22:23], -0.5, v[32:33]
	v_add_f64 v[38:39], v[36:37], v[38:39]
	v_fma_f64 v[32:33], v[30:31], s[8:9], v[22:23]
	v_fma_f64 v[22:23], v[30:31], s[14:15], v[22:23]
	;; [unrolled: 1-line block ×4, first 2 shown]
	v_add_f64 v[26:27], v[204:205], v[206:207]
	v_fma_f64 v[36:37], v[38:39], s[2:3], v[32:33]
	v_fma_f64 v[32:33], v[38:39], s[2:3], v[22:23]
	v_fma_f64 v[26:27], v[26:27], -0.5, v[34:35]
	v_add_f64 v[38:39], v[202:203], -v[204:205]
	v_add_f64 v[22:23], v[34:35], v[202:203]
	v_fma_f64 v[30:31], v[44:45], s[8:9], v[26:27]
	v_fma_f64 v[26:27], v[44:45], s[14:15], v[26:27]
	v_add_f64 v[38:39], v[38:39], v[48:49]
	v_add_f64 v[48:49], v[204:205], -v[202:203]
	v_add_f64 v[22:23], v[22:23], v[204:205]
	v_fma_f64 v[30:31], v[46:47], s[16:17], v[30:31]
	v_fma_f64 v[26:27], v[46:47], s[6:7], v[26:27]
	v_add_f64 v[48:49], v[48:49], v[50:51]
	;; [unrolled: 5-line block ×3, first 2 shown]
	v_add_f64 v[22:23], v[22:23], v[208:209]
	v_fma_f64 v[34:35], v[38:39], -0.5, v[34:35]
	v_fma_f64 v[38:39], v[46:47], s[14:15], v[34:35]
	v_fma_f64 v[34:35], v[46:47], s[8:9], v[34:35]
	v_add_f64 v[46:47], v[212:213], v[214:215]
	v_fma_f64 v[38:39], v[44:45], s[16:17], v[38:39]
	v_fma_f64 v[34:35], v[44:45], s[6:7], v[34:35]
	v_fma_f64 v[46:47], v[46:47], -0.5, v[40:41]
	v_add_f64 v[44:45], v[40:41], v[210:211]
	v_fma_f64 v[38:39], v[48:49], s[2:3], v[38:39]
	v_fma_f64 v[34:35], v[48:49], s[2:3], v[34:35]
	;; [unrolled: 1-line block ×4, first 2 shown]
	v_add_f64 v[44:45], v[44:45], v[212:213]
	v_fma_f64 v[48:49], v[54:55], s[6:7], v[48:49]
	v_fma_f64 v[46:47], v[54:55], s[16:17], v[46:47]
	v_add_f64 v[44:45], v[44:45], v[214:215]
	v_fma_f64 v[52:53], v[56:57], s[2:3], v[48:49]
	v_fma_f64 v[48:49], v[56:57], s[2:3], v[46:47]
	v_add_f64 v[46:47], v[210:211], v[216:217]
	v_add_f64 v[56:57], v[212:213], -v[210:211]
	v_add_f64 v[44:45], v[44:45], v[216:217]
	v_fma_f64 v[40:41], v[46:47], -0.5, v[40:41]
	v_add_f64 v[58:59], v[56:57], v[58:59]
	v_fma_f64 v[46:47], v[54:55], s[8:9], v[40:41]
	v_fma_f64 v[40:41], v[54:55], s[14:15], v[40:41]
	v_fma_f64 v[46:47], v[50:51], s[6:7], v[46:47]
	v_fma_f64 v[40:41], v[50:51], s[16:17], v[40:41]
	v_add_f64 v[50:51], v[196:197], v[198:199]
	v_fma_f64 v[56:57], v[58:59], s[2:3], v[46:47]
	v_fma_f64 v[40:41], v[58:59], s[2:3], v[40:41]
	v_fma_f64 v[50:51], v[50:51], -0.5, v[42:43]
	v_add_f64 v[58:59], v[194:195], -v[196:197]
	v_add_f64 v[46:47], v[42:43], v[194:195]
	v_fma_f64 v[54:55], v[60:61], s[8:9], v[50:51]
	v_fma_f64 v[50:51], v[60:61], s[14:15], v[50:51]
	v_add_f64 v[58:59], v[58:59], v[64:65]
	v_add_f64 v[64:65], v[196:197], -v[194:195]
	v_add_f64 v[46:47], v[46:47], v[196:197]
	v_fma_f64 v[54:55], v[62:63], s[16:17], v[54:55]
	v_fma_f64 v[50:51], v[62:63], s[6:7], v[50:51]
	v_add_f64 v[64:65], v[64:65], v[66:67]
	;; [unrolled: 5-line block ×3, first 2 shown]
	v_add_f64 v[46:47], v[46:47], v[200:201]
	v_fma_f64 v[42:43], v[58:59], -0.5, v[42:43]
	v_fma_f64 v[58:59], v[62:63], s[14:15], v[42:43]
	v_fma_f64 v[42:43], v[62:63], s[8:9], v[42:43]
	v_add_f64 v[62:63], v[188:189], v[190:191]
	v_fma_f64 v[58:59], v[60:61], s[16:17], v[58:59]
	v_fma_f64 v[42:43], v[60:61], s[6:7], v[42:43]
	v_fma_f64 v[62:63], v[62:63], -0.5, v[16:17]
	v_add_f64 v[60:61], v[16:17], v[186:187]
	v_fma_f64 v[58:59], v[64:65], s[2:3], v[58:59]
	v_fma_f64 v[42:43], v[64:65], s[2:3], v[42:43]
	;; [unrolled: 1-line block ×4, first 2 shown]
	v_add_f64 v[60:61], v[60:61], v[188:189]
	v_fma_f64 v[64:65], v[70:71], s[6:7], v[64:65]
	v_fma_f64 v[62:63], v[70:71], s[16:17], v[62:63]
	v_add_f64 v[60:61], v[60:61], v[190:191]
	v_fma_f64 v[68:69], v[72:73], s[2:3], v[64:65]
	v_fma_f64 v[64:65], v[72:73], s[2:3], v[62:63]
	v_add_f64 v[62:63], v[186:187], v[192:193]
	v_add_f64 v[72:73], v[188:189], -v[186:187]
	v_add_f64 v[60:61], v[60:61], v[192:193]
	v_fma_f64 v[16:17], v[62:63], -0.5, v[16:17]
	v_add_f64 v[74:75], v[72:73], v[74:75]
	v_fma_f64 v[62:63], v[70:71], s[8:9], v[16:17]
	v_fma_f64 v[16:17], v[70:71], s[14:15], v[16:17]
	;; [unrolled: 1-line block ×4, first 2 shown]
	v_add_f64 v[66:67], v[180:181], v[182:183]
	v_fma_f64 v[72:73], v[74:75], s[2:3], v[62:63]
	v_fma_f64 v[16:17], v[74:75], s[2:3], v[16:17]
	v_fma_f64 v[66:67], v[66:67], -0.5, v[18:19]
	v_add_f64 v[74:75], v[178:179], -v[180:181]
	v_add_f64 v[62:63], v[18:19], v[178:179]
	v_fma_f64 v[70:71], v[76:77], s[8:9], v[66:67]
	v_fma_f64 v[66:67], v[76:77], s[14:15], v[66:67]
	v_add_f64 v[74:75], v[74:75], v[80:81]
	v_add_f64 v[80:81], v[180:181], -v[178:179]
	v_add_f64 v[62:63], v[62:63], v[180:181]
	v_add_f64 v[180:181], v[86:87], -v[82:83]
	v_fma_f64 v[70:71], v[78:79], s[16:17], v[70:71]
	v_fma_f64 v[66:67], v[78:79], s[6:7], v[66:67]
	v_add_f64 v[80:81], v[80:81], v[84:85]
	v_add_f64 v[84:85], v[100:101], -v[104:105]
	v_add_f64 v[62:63], v[62:63], v[182:183]
	v_fma_f64 v[70:71], v[74:75], s[2:3], v[70:71]
	v_fma_f64 v[66:67], v[74:75], s[2:3], v[66:67]
	v_add_f64 v[74:75], v[178:179], v[184:185]
	v_add_f64 v[178:179], v[92:93], -v[94:95]
	v_add_f64 v[88:89], v[84:85], v[88:89]
	v_add_f64 v[62:63], v[62:63], v[184:185]
	v_fma_f64 v[18:19], v[74:75], -0.5, v[18:19]
	v_fma_f64 v[74:75], v[78:79], s[14:15], v[18:19]
	v_fma_f64 v[18:19], v[78:79], s[8:9], v[18:19]
	v_add_f64 v[78:79], v[104:105], v[86:87]
	v_fma_f64 v[74:75], v[76:77], s[16:17], v[74:75]
	v_fma_f64 v[18:19], v[76:77], s[6:7], v[18:19]
	v_fma_f64 v[78:79], v[78:79], -0.5, v[12:13]
	v_add_f64 v[76:77], v[12:13], v[100:101]
	v_fma_f64 v[74:75], v[80:81], s[2:3], v[74:75]
	v_fma_f64 v[18:19], v[80:81], s[2:3], v[18:19]
	;; [unrolled: 1-line block ×4, first 2 shown]
	v_add_f64 v[76:77], v[76:77], v[104:105]
	v_fma_f64 v[80:81], v[178:179], s[6:7], v[80:81]
	v_fma_f64 v[78:79], v[178:179], s[16:17], v[78:79]
	v_add_f64 v[76:77], v[76:77], v[86:87]
	v_fma_f64 v[84:85], v[88:89], s[2:3], v[80:81]
	v_fma_f64 v[80:81], v[88:89], s[2:3], v[78:79]
	v_add_f64 v[78:79], v[100:101], v[82:83]
	v_add_f64 v[88:89], v[104:105], -v[100:101]
	v_add_f64 v[100:101], v[100:101], -v[82:83]
	v_add_f64 v[76:77], v[76:77], v[82:83]
	v_add_f64 v[104:105], v[104:105], -v[86:87]
	v_add_f64 v[86:87], v[90:91], -v[92:93]
	v_fma_f64 v[12:13], v[78:79], -0.5, v[12:13]
	v_add_f64 v[180:181], v[88:89], v[180:181]
	v_fma_f64 v[78:79], v[178:179], s[8:9], v[12:13]
	v_fma_f64 v[12:13], v[178:179], s[14:15], v[12:13]
	v_add_f64 v[178:179], v[96:97], -v[94:95]
	v_fma_f64 v[78:79], v[124:125], s[6:7], v[78:79]
	v_fma_f64 v[12:13], v[124:125], s[16:17], v[12:13]
	v_add_f64 v[124:125], v[92:93], v[94:95]
	v_add_f64 v[178:179], v[86:87], v[178:179]
	v_fma_f64 v[88:89], v[180:181], s[2:3], v[78:79]
	v_add_f64 v[78:79], v[14:15], v[90:91]
	v_fma_f64 v[124:125], v[124:125], -0.5, v[14:15]
	v_fma_f64 v[12:13], v[180:181], s[2:3], v[12:13]
	v_add_f64 v[180:181], v[116:117], -v[120:121]
	v_add_f64 v[78:79], v[78:79], v[92:93]
	v_fma_f64 v[82:83], v[100:101], s[8:9], v[124:125]
	v_add_f64 v[78:79], v[78:79], v[94:95]
	v_fma_f64 v[82:83], v[104:105], s[16:17], v[82:83]
	;; [unrolled: 2-line block ×3, first 2 shown]
	v_fma_f64 v[82:83], v[100:101], s[14:15], v[124:125]
	v_add_f64 v[124:125], v[90:91], v[96:97]
	v_add_f64 v[90:91], v[92:93], -v[90:91]
	v_add_f64 v[92:93], v[94:95], -v[96:97]
	v_add_f64 v[94:95], v[102:103], v[116:117]
	v_fma_f64 v[82:83], v[104:105], s[6:7], v[82:83]
	v_fma_f64 v[14:15], v[124:125], -0.5, v[14:15]
	v_add_f64 v[92:93], v[90:91], v[92:93]
	v_fma_f64 v[94:95], v[94:95], -0.5, v[8:9]
	v_fma_f64 v[82:83], v[178:179], s[2:3], v[82:83]
	v_fma_f64 v[124:125], v[104:105], s[14:15], v[14:15]
	;; [unrolled: 1-line block ×3, first 2 shown]
	v_add_f64 v[178:179], v[108:109], -v[110:111]
	v_add_f64 v[104:105], v[120:121], -v[116:117]
	v_fma_f64 v[124:125], v[100:101], s[16:17], v[124:125]
	v_fma_f64 v[14:15], v[100:101], s[6:7], v[14:15]
	v_add_f64 v[100:101], v[98:99], -v[102:103]
	v_fma_f64 v[90:91], v[92:93], s[2:3], v[124:125]
	v_add_f64 v[124:125], v[106:107], -v[112:113]
	v_add_f64 v[104:105], v[100:101], v[104:105]
	v_fma_f64 v[14:15], v[92:93], s[2:3], v[14:15]
	v_add_f64 v[92:93], v[8:9], v[98:99]
	v_fma_f64 v[96:97], v[124:125], s[14:15], v[94:95]
	v_fma_f64 v[94:95], v[124:125], s[8:9], v[94:95]
	v_add_f64 v[92:93], v[92:93], v[102:103]
	v_fma_f64 v[96:97], v[178:179], s[6:7], v[96:97]
	v_fma_f64 v[94:95], v[178:179], s[16:17], v[94:95]
	v_add_f64 v[92:93], v[92:93], v[116:117]
	v_add_f64 v[116:117], v[102:103], -v[116:117]
	v_fma_f64 v[100:101], v[104:105], s[2:3], v[96:97]
	v_fma_f64 v[96:97], v[104:105], s[2:3], v[94:95]
	v_add_f64 v[94:95], v[98:99], v[120:121]
	v_add_f64 v[92:93], v[92:93], v[120:121]
	v_add_f64 v[120:121], v[98:99], -v[120:121]
	v_add_f64 v[104:105], v[102:103], -v[98:99]
	;; [unrolled: 1-line block ×3, first 2 shown]
	v_fma_f64 v[8:9], v[94:95], -0.5, v[8:9]
	v_add_f64 v[180:181], v[104:105], v[180:181]
	v_fma_f64 v[94:95], v[178:179], s[8:9], v[8:9]
	v_fma_f64 v[8:9], v[178:179], s[14:15], v[8:9]
	v_add_f64 v[178:179], v[112:113], -v[110:111]
	v_fma_f64 v[94:95], v[124:125], s[6:7], v[94:95]
	v_fma_f64 v[8:9], v[124:125], s[16:17], v[8:9]
	v_add_f64 v[124:125], v[108:109], v[110:111]
	v_add_f64 v[178:179], v[102:103], v[178:179]
	v_fma_f64 v[104:105], v[180:181], s[2:3], v[94:95]
	v_add_f64 v[94:95], v[10:11], v[106:107]
	v_fma_f64 v[124:125], v[124:125], -0.5, v[10:11]
	v_fma_f64 v[8:9], v[180:181], s[2:3], v[8:9]
	v_add_f64 v[180:181], v[141:142], -v[170:171]
	v_add_f64 v[94:95], v[94:95], v[108:109]
	v_fma_f64 v[98:99], v[120:121], s[8:9], v[124:125]
	v_add_f64 v[94:95], v[94:95], v[110:111]
	v_fma_f64 v[98:99], v[116:117], s[16:17], v[98:99]
	;; [unrolled: 2-line block ×3, first 2 shown]
	v_fma_f64 v[98:99], v[120:121], s[14:15], v[124:125]
	v_add_f64 v[124:125], v[106:107], v[112:113]
	v_add_f64 v[106:107], v[108:109], -v[106:107]
	v_add_f64 v[108:109], v[110:111], -v[112:113]
	v_add_f64 v[110:111], v[118:119], v[141:142]
	v_fma_f64 v[98:99], v[116:117], s[6:7], v[98:99]
	v_fma_f64 v[10:11], v[124:125], -0.5, v[10:11]
	v_add_f64 v[108:109], v[106:107], v[108:109]
	v_fma_f64 v[110:111], v[110:111], -0.5, v[4:5]
	v_fma_f64 v[98:99], v[178:179], s[2:3], v[98:99]
	v_fma_f64 v[124:125], v[116:117], s[14:15], v[10:11]
	;; [unrolled: 1-line block ×3, first 2 shown]
	v_add_f64 v[178:179], v[126:127], -v[129:130]
	v_add_f64 v[116:117], v[114:115], -v[118:119]
	v_fma_f64 v[124:125], v[120:121], s[16:17], v[124:125]
	v_fma_f64 v[10:11], v[120:121], s[6:7], v[10:11]
	v_add_f64 v[120:121], v[170:171], -v[141:142]
	v_fma_f64 v[106:107], v[108:109], s[2:3], v[124:125]
	v_add_f64 v[124:125], v[122:123], -v[131:132]
	v_add_f64 v[120:121], v[116:117], v[120:121]
	v_fma_f64 v[10:11], v[108:109], s[2:3], v[10:11]
	v_add_f64 v[108:109], v[4:5], v[114:115]
	v_fma_f64 v[112:113], v[124:125], s[14:15], v[110:111]
	v_fma_f64 v[110:111], v[124:125], s[8:9], v[110:111]
	v_add_f64 v[108:109], v[108:109], v[118:119]
	v_fma_f64 v[112:113], v[178:179], s[6:7], v[112:113]
	v_fma_f64 v[110:111], v[178:179], s[16:17], v[110:111]
	v_add_f64 v[108:109], v[108:109], v[141:142]
	v_add_f64 v[141:142], v[118:119], -v[141:142]
	v_fma_f64 v[116:117], v[120:121], s[2:3], v[112:113]
	v_fma_f64 v[112:113], v[120:121], s[2:3], v[110:111]
	v_add_f64 v[110:111], v[114:115], v[170:171]
	v_add_f64 v[108:109], v[108:109], v[170:171]
	v_add_f64 v[170:171], v[114:115], -v[170:171]
	v_add_f64 v[120:121], v[118:119], -v[114:115]
	v_add_f64 v[118:119], v[122:123], -v[126:127]
	v_fma_f64 v[4:5], v[110:111], -0.5, v[4:5]
	v_add_f64 v[180:181], v[120:121], v[180:181]
	v_fma_f64 v[110:111], v[178:179], s[8:9], v[4:5]
	v_fma_f64 v[4:5], v[178:179], s[14:15], v[4:5]
	v_add_f64 v[178:179], v[131:132], -v[129:130]
	v_fma_f64 v[110:111], v[124:125], s[6:7], v[110:111]
	v_fma_f64 v[4:5], v[124:125], s[16:17], v[4:5]
	v_add_f64 v[124:125], v[126:127], v[129:130]
	v_add_f64 v[178:179], v[118:119], v[178:179]
	v_fma_f64 v[120:121], v[180:181], s[2:3], v[110:111]
	v_add_f64 v[110:111], v[6:7], v[122:123]
	v_fma_f64 v[124:125], v[124:125], -0.5, v[6:7]
	v_fma_f64 v[4:5], v[180:181], s[2:3], v[4:5]
	v_add_f64 v[180:181], v[174:175], -v[176:177]
	v_add_f64 v[110:111], v[110:111], v[126:127]
	v_fma_f64 v[114:115], v[170:171], s[8:9], v[124:125]
	v_add_f64 v[110:111], v[110:111], v[129:130]
	v_fma_f64 v[114:115], v[141:142], s[16:17], v[114:115]
	v_add_f64 v[110:111], v[110:111], v[131:132]
	v_fma_f64 v[118:119], v[178:179], s[2:3], v[114:115]
	v_fma_f64 v[114:115], v[170:171], s[14:15], v[124:125]
	v_add_f64 v[124:125], v[122:123], v[131:132]
	v_add_f64 v[122:123], v[126:127], -v[122:123]
	v_add_f64 v[126:127], v[129:130], -v[131:132]
	;; [unrolled: 1-line block ×3, first 2 shown]
	v_fma_f64 v[114:115], v[141:142], s[6:7], v[114:115]
	v_fma_f64 v[6:7], v[124:125], -0.5, v[6:7]
	v_add_f64 v[126:127], v[122:123], v[126:127]
	v_fma_f64 v[114:115], v[178:179], s[2:3], v[114:115]
	v_fma_f64 v[124:125], v[141:142], s[14:15], v[6:7]
	;; [unrolled: 1-line block ×3, first 2 shown]
	v_add_f64 v[141:142], v[135:136], -v[137:138]
	v_add_f64 v[178:179], v[176:177], -v[174:175]
	v_fma_f64 v[124:125], v[170:171], s[16:17], v[124:125]
	v_fma_f64 v[6:7], v[170:171], s[6:7], v[6:7]
	v_add_f64 v[170:171], v[168:169], -v[172:173]
	v_fma_f64 v[122:123], v[126:127], s[2:3], v[124:125]
	v_fma_f64 v[6:7], v[126:127], s[2:3], v[6:7]
	v_add_f64 v[126:127], v[172:173], v[174:175]
	v_add_f64 v[170:171], v[170:171], v[178:179]
	;; [unrolled: 1-line block ×3, first 2 shown]
	v_add_f64 v[178:179], v[172:173], -v[168:169]
	v_fma_f64 v[126:127], v[126:127], -0.5, v[0:1]
	v_add_f64 v[124:125], v[124:125], v[172:173]
	v_add_f64 v[178:179], v[178:179], v[180:181]
	v_fma_f64 v[129:130], v[131:132], s[14:15], v[126:127]
	v_fma_f64 v[126:127], v[131:132], s[8:9], v[126:127]
	v_add_f64 v[124:125], v[124:125], v[174:175]
	v_add_f64 v[174:175], v[172:173], -v[174:175]
	v_add_f64 v[172:173], v[133:134], -v[135:136]
	v_fma_f64 v[129:130], v[141:142], s[6:7], v[129:130]
	v_fma_f64 v[126:127], v[141:142], s[16:17], v[126:127]
	v_add_f64 v[124:125], v[124:125], v[176:177]
	v_fma_f64 v[129:130], v[170:171], s[2:3], v[129:130]
	v_fma_f64 v[170:171], v[170:171], s[2:3], v[126:127]
	v_add_f64 v[126:127], v[168:169], v[176:177]
	v_add_f64 v[168:169], v[168:169], -v[176:177]
	v_add_f64 v[176:177], v[139:140], -v[137:138]
	v_fma_f64 v[126:127], v[126:127], -0.5, v[0:1]
	v_add_f64 v[172:173], v[172:173], v[176:177]
	v_fma_f64 v[0:1], v[141:142], s[8:9], v[126:127]
	v_fma_f64 v[126:127], v[141:142], s[14:15], v[126:127]
	;; [unrolled: 1-line block ×4, first 2 shown]
	v_add_f64 v[131:132], v[135:136], v[137:138]
	v_fma_f64 v[0:1], v[178:179], s[2:3], v[0:1]
	v_fma_f64 v[178:179], v[178:179], s[2:3], v[126:127]
	v_fma_f64 v[141:142], v[131:132], -0.5, v[2:3]
	v_add_f64 v[126:127], v[2:3], v[133:134]
	v_fma_f64 v[131:132], v[168:169], s[8:9], v[141:142]
	v_fma_f64 v[141:142], v[168:169], s[14:15], v[141:142]
	v_add_f64 v[126:127], v[126:127], v[135:136]
	v_fma_f64 v[131:132], v[174:175], s[16:17], v[131:132]
	v_fma_f64 v[141:142], v[174:175], s[6:7], v[141:142]
	;; [unrolled: 3-line block ×3, first 2 shown]
	v_add_f64 v[141:142], v[133:134], v[139:140]
	v_add_f64 v[133:134], v[135:136], -v[133:134]
	v_add_f64 v[135:136], v[137:138], -v[139:140]
	v_add_f64 v[126:127], v[126:127], v[139:140]
	v_fma_f64 v[141:142], v[141:142], -0.5, v[2:3]
	v_add_f64 v[133:134], v[133:134], v[135:136]
	v_fma_f64 v[2:3], v[174:175], s[14:15], v[141:142]
	v_fma_f64 v[135:136], v[174:175], s[8:9], v[141:142]
	s_add_u32 s8, s12, 0x7a40
	s_addc_u32 s9, s13, 0
	v_fma_f64 v[2:3], v[168:169], s[16:17], v[2:3]
	v_fma_f64 v[135:136], v[168:169], s[6:7], v[135:136]
	;; [unrolled: 1-line block ×4, first 2 shown]
	ds_write_b128 v226, v[20:23]
	ds_write_b128 v226, v[28:31] offset:6272
	ds_write_b128 v226, v[36:39] offset:12544
	ds_write_b128 v226, v[32:35] offset:18816
	ds_write_b128 v226, v[24:27] offset:25088
	ds_write_b128 v230, v[44:47]
	ds_write_b128 v230, v[52:55] offset:6272
	ds_write_b128 v230, v[56:59] offset:12544
	ds_write_b128 v230, v[40:43] offset:18816
	ds_write_b128 v230, v[48:51] offset:25088
	;; [unrolled: 5-line block ×7, first 2 shown]
	s_waitcnt lgkmcnt(0)
	; wave barrier
	s_waitcnt lgkmcnt(0)
	ds_read_b128 v[4:7], v226
	v_lshlrev_b32_e32 v0, 4, v144
	v_sub_u32_e32 v10, 0, v0
	v_cmp_ne_u32_e64 s[2:3], 0, v144
                                        ; implicit-def: $vgpr2_vgpr3
                                        ; implicit-def: $vgpr8_vgpr9
	s_and_saveexec_b64 s[6:7], s[2:3]
	s_xor_b64 s[6:7], exec, s[6:7]
	s_cbranch_execz .LBB0_21
; %bb.20:
	v_mov_b32_e32 v145, 0
	v_lshlrev_b64 v[0:1], 4, v[144:145]
	v_mov_b32_e32 v2, s9
	v_add_co_u32_e64 v0, s[2:3], s8, v0
	v_addc_co_u32_e64 v1, s[2:3], v2, v1, s[2:3]
	global_load_dwordx4 v[11:14], v[0:1], off
	ds_read_b128 v[0:3], v10 offset:31360
	s_waitcnt lgkmcnt(0)
	v_add_f64 v[8:9], v[4:5], -v[0:1]
	v_add_f64 v[15:16], v[6:7], v[2:3]
	v_add_f64 v[2:3], v[6:7], -v[2:3]
	v_add_f64 v[0:1], v[4:5], v[0:1]
	v_mul_f64 v[6:7], v[8:9], 0.5
	v_mul_f64 v[4:5], v[15:16], 0.5
	;; [unrolled: 1-line block ×3, first 2 shown]
	s_waitcnt vmcnt(0)
	v_mul_f64 v[8:9], v[6:7], v[13:14]
	v_fma_f64 v[15:16], v[4:5], v[13:14], v[2:3]
	v_fma_f64 v[2:3], v[4:5], v[13:14], -v[2:3]
	v_fma_f64 v[17:18], v[0:1], 0.5, v[8:9]
	v_fma_f64 v[0:1], v[0:1], 0.5, -v[8:9]
	v_fma_f64 v[8:9], -v[11:12], v[6:7], v[15:16]
	v_fma_f64 v[2:3], -v[11:12], v[6:7], v[2:3]
	v_fma_f64 v[13:14], v[4:5], v[11:12], v[17:18]
	v_fma_f64 v[0:1], -v[4:5], v[11:12], v[0:1]
                                        ; implicit-def: $vgpr4_vgpr5
	ds_write_b64 v226, v[13:14]
.LBB0_21:
	s_andn2_saveexec_b64 s[2:3], s[6:7]
	s_cbranch_execz .LBB0_23
; %bb.22:
	s_waitcnt lgkmcnt(0)
	v_add_f64 v[2:3], v[4:5], v[6:7]
	v_mov_b32_e32 v13, 0
	ds_read_b64 v[11:12], v13 offset:15688
	v_add_f64 v[0:1], v[4:5], -v[6:7]
	v_mov_b32_e32 v8, 0
	v_mov_b32_e32 v9, 0
	s_waitcnt lgkmcnt(0)
	v_xor_b32_e32 v12, 0x80000000, v12
	ds_write_b64 v13, v[11:12] offset:15688
	ds_write_b64 v226, v[2:3]
	v_mov_b32_e32 v2, v8
	v_mov_b32_e32 v3, v9
.LBB0_23:
	s_or_b64 exec, exec, s[2:3]
	v_mov_b32_e32 v151, 0
	s_waitcnt lgkmcnt(0)
	v_lshlrev_b64 v[4:5], 4, v[150:151]
	v_mov_b32_e32 v6, s9
	v_add_co_u32_e64 v4, s[2:3], s8, v4
	v_addc_co_u32_e64 v5, s[2:3], v6, v5, s[2:3]
	global_load_dwordx4 v[4:7], v[4:5], off
	v_mov_b32_e32 v159, v151
	v_lshlrev_b64 v[11:12], 4, v[158:159]
	v_mov_b32_e32 v13, s9
	v_add_co_u32_e64 v11, s[2:3], s8, v11
	v_addc_co_u32_e64 v12, s[2:3], v13, v12, s[2:3]
	global_load_dwordx4 v[11:14], v[11:12], off
	ds_write_b64 v226, v[8:9] offset:8
	ds_write_b128 v10, v[0:3] offset:31360
	ds_read_b128 v[0:3], v230
	ds_read_b128 v[15:18], v10 offset:30464
	v_mov_b32_e32 v158, v151
	v_mov_b32_e32 v27, s9
	;; [unrolled: 1-line block ×3, first 2 shown]
	s_waitcnt lgkmcnt(0)
	v_add_f64 v[8:9], v[0:1], -v[15:16]
	v_add_f64 v[19:20], v[2:3], v[17:18]
	v_add_f64 v[2:3], v[2:3], -v[17:18]
	v_add_f64 v[0:1], v[0:1], v[15:16]
	v_lshlrev_b64 v[15:16], 4, v[157:158]
	v_mov_b32_e32 v157, v151
	v_mul_f64 v[17:18], v[8:9], 0.5
	v_mul_f64 v[19:20], v[19:20], 0.5
	;; [unrolled: 1-line block ×3, first 2 shown]
	s_waitcnt vmcnt(1)
	v_mul_f64 v[8:9], v[17:18], v[6:7]
	v_fma_f64 v[21:22], v[19:20], v[6:7], v[2:3]
	v_fma_f64 v[6:7], v[19:20], v[6:7], -v[2:3]
	v_fma_f64 v[23:24], v[0:1], 0.5, v[8:9]
	v_fma_f64 v[25:26], v[0:1], 0.5, -v[8:9]
	v_add_co_u32_e64 v0, s[2:3], s8, v15
	v_addc_co_u32_e64 v1, s[2:3], v27, v16, s[2:3]
	global_load_dwordx4 v[0:3], v[0:1], off
	v_fma_f64 v[8:9], -v[4:5], v[17:18], v[21:22]
	v_fma_f64 v[17:18], -v[4:5], v[17:18], v[6:7]
	v_fma_f64 v[6:7], v[19:20], v[4:5], v[23:24]
	v_fma_f64 v[15:16], -v[19:20], v[4:5], v[25:26]
	ds_write_b128 v230, v[6:9]
	ds_write_b128 v10, v[15:18] offset:30464
	ds_read_b128 v[4:7], v229
	ds_read_b128 v[15:18], v10 offset:29568
	s_waitcnt lgkmcnt(0)
	v_add_f64 v[8:9], v[4:5], -v[15:16]
	v_add_f64 v[19:20], v[6:7], v[17:18]
	v_add_f64 v[6:7], v[6:7], -v[17:18]
	v_add_f64 v[4:5], v[4:5], v[15:16]
	v_mul_f64 v[8:9], v[8:9], 0.5
	v_mul_f64 v[17:18], v[19:20], 0.5
	;; [unrolled: 1-line block ×3, first 2 shown]
	v_lshlrev_b64 v[19:20], 4, v[156:157]
	v_mov_b32_e32 v156, v151
	s_waitcnt vmcnt(1)
	v_mul_f64 v[15:16], v[8:9], v[13:14]
	v_fma_f64 v[21:22], v[17:18], v[13:14], v[6:7]
	v_fma_f64 v[13:14], v[17:18], v[13:14], -v[6:7]
	v_fma_f64 v[23:24], v[4:5], 0.5, v[15:16]
	v_fma_f64 v[25:26], v[4:5], 0.5, -v[15:16]
	v_add_co_u32_e64 v4, s[2:3], s8, v19
	v_addc_co_u32_e64 v5, s[2:3], v27, v20, s[2:3]
	global_load_dwordx4 v[4:7], v[4:5], off
	v_fma_f64 v[15:16], -v[11:12], v[8:9], v[21:22]
	v_fma_f64 v[19:20], -v[11:12], v[8:9], v[13:14]
	v_fma_f64 v[13:14], v[17:18], v[11:12], v[23:24]
	v_fma_f64 v[17:18], -v[17:18], v[11:12], v[25:26]
	ds_write_b128 v229, v[13:16]
	ds_write_b128 v10, v[17:20] offset:29568
	ds_read_b128 v[11:14], v228
	ds_read_b128 v[15:18], v10 offset:28672
	s_waitcnt lgkmcnt(0)
	v_add_f64 v[8:9], v[11:12], -v[15:16]
	v_add_f64 v[19:20], v[13:14], v[17:18]
	v_add_f64 v[13:14], v[13:14], -v[17:18]
	v_add_f64 v[11:12], v[11:12], v[15:16]
	v_lshlrev_b64 v[17:18], 4, v[155:156]
	v_mov_b32_e32 v155, v151
	v_mul_f64 v[8:9], v[8:9], 0.5
	v_mul_f64 v[19:20], v[19:20], 0.5
	;; [unrolled: 1-line block ×3, first 2 shown]
	s_waitcnt vmcnt(1)
	v_mul_f64 v[15:16], v[8:9], v[2:3]
	v_fma_f64 v[21:22], v[19:20], v[2:3], v[13:14]
	v_fma_f64 v[2:3], v[19:20], v[2:3], -v[13:14]
	v_fma_f64 v[23:24], v[11:12], 0.5, v[15:16]
	v_fma_f64 v[25:26], v[11:12], 0.5, -v[15:16]
	v_add_co_u32_e64 v11, s[2:3], s8, v17
	v_addc_co_u32_e64 v12, s[2:3], v27, v18, s[2:3]
	global_load_dwordx4 v[11:14], v[11:12], off
	v_fma_f64 v[17:18], -v[0:1], v[8:9], v[21:22]
	v_fma_f64 v[15:16], v[19:20], v[0:1], v[23:24]
	v_fma_f64 v[2:3], -v[0:1], v[8:9], v[2:3]
	v_fma_f64 v[0:1], -v[19:20], v[0:1], v[25:26]
	ds_write_b128 v228, v[15:18]
	ds_write_b128 v10, v[0:3] offset:28672
	ds_read_b128 v[0:3], v227
	ds_read_b128 v[15:18], v10 offset:27776
	s_waitcnt lgkmcnt(0)
	v_add_f64 v[8:9], v[0:1], -v[15:16]
	v_add_f64 v[19:20], v[2:3], v[17:18]
	v_add_f64 v[2:3], v[2:3], -v[17:18]
	v_add_f64 v[0:1], v[0:1], v[15:16]
	v_lshlrev_b64 v[15:16], 4, v[154:155]
	v_mov_b32_e32 v154, v151
	v_mul_f64 v[17:18], v[8:9], 0.5
	v_mul_f64 v[19:20], v[19:20], 0.5
	;; [unrolled: 1-line block ×3, first 2 shown]
	s_waitcnt vmcnt(1)
	v_mul_f64 v[8:9], v[17:18], v[6:7]
	v_fma_f64 v[21:22], v[19:20], v[6:7], v[2:3]
	v_fma_f64 v[6:7], v[19:20], v[6:7], -v[2:3]
	v_fma_f64 v[23:24], v[0:1], 0.5, v[8:9]
	v_fma_f64 v[25:26], v[0:1], 0.5, -v[8:9]
	v_add_co_u32_e64 v0, s[2:3], s8, v15
	v_addc_co_u32_e64 v1, s[2:3], v27, v16, s[2:3]
	global_load_dwordx4 v[0:3], v[0:1], off
	v_fma_f64 v[8:9], -v[4:5], v[17:18], v[21:22]
	v_fma_f64 v[17:18], -v[4:5], v[17:18], v[6:7]
	v_fma_f64 v[6:7], v[19:20], v[4:5], v[23:24]
	v_fma_f64 v[15:16], -v[19:20], v[4:5], v[25:26]
	ds_write_b128 v227, v[6:9]
	ds_write_b128 v10, v[15:18] offset:27776
	ds_read_b128 v[4:7], v143
	ds_read_b128 v[15:18], v10 offset:26880
	s_waitcnt lgkmcnt(0)
	v_add_f64 v[8:9], v[4:5], -v[15:16]
	v_add_f64 v[19:20], v[6:7], v[17:18]
	v_add_f64 v[6:7], v[6:7], -v[17:18]
	v_add_f64 v[4:5], v[4:5], v[15:16]
	v_mul_f64 v[8:9], v[8:9], 0.5
	v_mul_f64 v[17:18], v[19:20], 0.5
	;; [unrolled: 1-line block ×3, first 2 shown]
	v_lshlrev_b64 v[19:20], 4, v[153:154]
	v_mov_b32_e32 v153, v151
	s_waitcnt vmcnt(1)
	v_mul_f64 v[15:16], v[8:9], v[13:14]
	v_fma_f64 v[21:22], v[17:18], v[13:14], v[6:7]
	v_fma_f64 v[13:14], v[17:18], v[13:14], -v[6:7]
	v_fma_f64 v[23:24], v[4:5], 0.5, v[15:16]
	v_fma_f64 v[25:26], v[4:5], 0.5, -v[15:16]
	v_add_co_u32_e64 v4, s[2:3], s8, v19
	v_addc_co_u32_e64 v5, s[2:3], v27, v20, s[2:3]
	global_load_dwordx4 v[4:7], v[4:5], off
	v_fma_f64 v[15:16], -v[11:12], v[8:9], v[21:22]
	v_fma_f64 v[19:20], -v[11:12], v[8:9], v[13:14]
	v_fma_f64 v[13:14], v[17:18], v[11:12], v[23:24]
	v_fma_f64 v[17:18], -v[17:18], v[11:12], v[25:26]
	ds_write_b128 v143, v[13:16]
	ds_write_b128 v10, v[17:20] offset:26880
	ds_read_b128 v[11:14], v233
	ds_read_b128 v[15:18], v10 offset:25984
	s_waitcnt lgkmcnt(0)
	v_add_f64 v[8:9], v[11:12], -v[15:16]
	v_add_f64 v[19:20], v[13:14], v[17:18]
	v_add_f64 v[13:14], v[13:14], -v[17:18]
	v_add_f64 v[11:12], v[11:12], v[15:16]
	v_lshlrev_b64 v[17:18], 4, v[152:153]
	v_mul_f64 v[8:9], v[8:9], 0.5
	v_mul_f64 v[19:20], v[19:20], 0.5
	;; [unrolled: 1-line block ×3, first 2 shown]
	s_waitcnt vmcnt(1)
	v_mul_f64 v[15:16], v[8:9], v[2:3]
	v_fma_f64 v[21:22], v[19:20], v[2:3], v[13:14]
	v_fma_f64 v[2:3], v[19:20], v[2:3], -v[13:14]
	v_fma_f64 v[23:24], v[11:12], 0.5, v[15:16]
	v_fma_f64 v[25:26], v[11:12], 0.5, -v[15:16]
	v_add_co_u32_e64 v11, s[2:3], s8, v17
	v_addc_co_u32_e64 v12, s[2:3], v27, v18, s[2:3]
	global_load_dwordx4 v[11:14], v[11:12], off
	v_fma_f64 v[17:18], -v[0:1], v[8:9], v[21:22]
	v_fma_f64 v[15:16], v[19:20], v[0:1], v[23:24]
	v_fma_f64 v[2:3], -v[0:1], v[8:9], v[2:3]
	v_fma_f64 v[0:1], -v[19:20], v[0:1], v[25:26]
	ds_write_b128 v233, v[15:18]
	ds_write_b128 v10, v[0:3] offset:25984
	ds_read_b128 v[0:3], v232
	ds_read_b128 v[15:18], v10 offset:25088
	s_waitcnt lgkmcnt(0)
	v_add_f64 v[8:9], v[0:1], -v[15:16]
	v_add_f64 v[19:20], v[2:3], v[17:18]
	v_add_f64 v[2:3], v[2:3], -v[17:18]
	v_add_f64 v[0:1], v[0:1], v[15:16]
	v_lshlrev_b64 v[15:16], 4, v[167:168]
	v_mov_b32_e32 v167, v151
	v_mul_f64 v[17:18], v[8:9], 0.5
	v_mul_f64 v[19:20], v[19:20], 0.5
	;; [unrolled: 1-line block ×3, first 2 shown]
	s_waitcnt vmcnt(1)
	v_mul_f64 v[8:9], v[17:18], v[6:7]
	v_fma_f64 v[21:22], v[19:20], v[6:7], v[2:3]
	v_fma_f64 v[6:7], v[19:20], v[6:7], -v[2:3]
	v_fma_f64 v[23:24], v[0:1], 0.5, v[8:9]
	v_fma_f64 v[25:26], v[0:1], 0.5, -v[8:9]
	v_add_co_u32_e64 v0, s[2:3], s8, v15
	v_addc_co_u32_e64 v1, s[2:3], v27, v16, s[2:3]
	global_load_dwordx4 v[0:3], v[0:1], off
	v_fma_f64 v[8:9], -v[4:5], v[17:18], v[21:22]
	v_fma_f64 v[17:18], -v[4:5], v[17:18], v[6:7]
	v_fma_f64 v[6:7], v[19:20], v[4:5], v[23:24]
	v_fma_f64 v[15:16], -v[19:20], v[4:5], v[25:26]
	ds_write_b128 v232, v[6:9]
	ds_write_b128 v10, v[15:18] offset:25088
	ds_read_b128 v[4:7], v231
	ds_read_b128 v[15:18], v10 offset:24192
	s_waitcnt lgkmcnt(0)
	v_add_f64 v[8:9], v[4:5], -v[15:16]
	v_add_f64 v[19:20], v[6:7], v[17:18]
	v_add_f64 v[6:7], v[6:7], -v[17:18]
	v_add_f64 v[4:5], v[4:5], v[15:16]
	v_mul_f64 v[8:9], v[8:9], 0.5
	v_mul_f64 v[17:18], v[19:20], 0.5
	;; [unrolled: 1-line block ×3, first 2 shown]
	v_lshlrev_b64 v[19:20], 4, v[166:167]
	v_mov_b32_e32 v166, v151
	s_waitcnt vmcnt(1)
	v_mul_f64 v[15:16], v[8:9], v[13:14]
	v_fma_f64 v[21:22], v[17:18], v[13:14], v[6:7]
	v_fma_f64 v[13:14], v[17:18], v[13:14], -v[6:7]
	v_fma_f64 v[23:24], v[4:5], 0.5, v[15:16]
	v_fma_f64 v[25:26], v[4:5], 0.5, -v[15:16]
	v_add_co_u32_e64 v4, s[2:3], s8, v19
	v_addc_co_u32_e64 v5, s[2:3], v27, v20, s[2:3]
	global_load_dwordx4 v[4:7], v[4:5], off
	v_fma_f64 v[15:16], -v[11:12], v[8:9], v[21:22]
	v_fma_f64 v[19:20], -v[11:12], v[8:9], v[13:14]
	v_fma_f64 v[13:14], v[17:18], v[11:12], v[23:24]
	v_fma_f64 v[17:18], -v[17:18], v[11:12], v[25:26]
	ds_write_b128 v231, v[13:16]
	ds_write_b128 v10, v[17:20] offset:24192
	ds_read_b128 v[11:14], v226 offset:8064
	ds_read_b128 v[15:18], v10 offset:23296
	s_waitcnt lgkmcnt(0)
	v_add_f64 v[8:9], v[11:12], -v[15:16]
	v_add_f64 v[19:20], v[13:14], v[17:18]
	v_add_f64 v[13:14], v[13:14], -v[17:18]
	v_add_f64 v[11:12], v[11:12], v[15:16]
	v_lshlrev_b64 v[17:18], 4, v[165:166]
	v_mov_b32_e32 v165, v151
	v_mul_f64 v[8:9], v[8:9], 0.5
	v_mul_f64 v[19:20], v[19:20], 0.5
	;; [unrolled: 1-line block ×3, first 2 shown]
	s_waitcnt vmcnt(1)
	v_mul_f64 v[15:16], v[8:9], v[2:3]
	v_fma_f64 v[21:22], v[19:20], v[2:3], v[13:14]
	v_fma_f64 v[2:3], v[19:20], v[2:3], -v[13:14]
	v_fma_f64 v[23:24], v[11:12], 0.5, v[15:16]
	v_fma_f64 v[25:26], v[11:12], 0.5, -v[15:16]
	v_add_co_u32_e64 v11, s[2:3], s8, v17
	v_addc_co_u32_e64 v12, s[2:3], v27, v18, s[2:3]
	global_load_dwordx4 v[11:14], v[11:12], off
	v_fma_f64 v[17:18], -v[0:1], v[8:9], v[21:22]
	v_fma_f64 v[15:16], v[19:20], v[0:1], v[23:24]
	v_fma_f64 v[2:3], -v[0:1], v[8:9], v[2:3]
	v_fma_f64 v[0:1], -v[19:20], v[0:1], v[25:26]
	ds_write_b128 v226, v[15:18] offset:8064
	ds_write_b128 v10, v[0:3] offset:23296
	ds_read_b128 v[0:3], v226 offset:8960
	ds_read_b128 v[15:18], v10 offset:22400
	s_waitcnt lgkmcnt(0)
	v_add_f64 v[8:9], v[0:1], -v[15:16]
	v_add_f64 v[19:20], v[2:3], v[17:18]
	v_add_f64 v[2:3], v[2:3], -v[17:18]
	v_add_f64 v[0:1], v[0:1], v[15:16]
	v_lshlrev_b64 v[15:16], 4, v[164:165]
	v_mov_b32_e32 v164, v151
	v_mul_f64 v[17:18], v[8:9], 0.5
	v_mul_f64 v[19:20], v[19:20], 0.5
	;; [unrolled: 1-line block ×3, first 2 shown]
	s_waitcnt vmcnt(1)
	v_mul_f64 v[8:9], v[17:18], v[6:7]
	v_fma_f64 v[21:22], v[19:20], v[6:7], v[2:3]
	v_fma_f64 v[6:7], v[19:20], v[6:7], -v[2:3]
	v_fma_f64 v[23:24], v[0:1], 0.5, v[8:9]
	v_fma_f64 v[25:26], v[0:1], 0.5, -v[8:9]
	v_add_co_u32_e64 v0, s[2:3], s8, v15
	v_addc_co_u32_e64 v1, s[2:3], v27, v16, s[2:3]
	global_load_dwordx4 v[0:3], v[0:1], off
	v_fma_f64 v[8:9], -v[4:5], v[17:18], v[21:22]
	v_fma_f64 v[17:18], -v[4:5], v[17:18], v[6:7]
	v_fma_f64 v[6:7], v[19:20], v[4:5], v[23:24]
	v_fma_f64 v[15:16], -v[19:20], v[4:5], v[25:26]
	ds_write_b128 v226, v[6:9] offset:8960
	ds_write_b128 v10, v[15:18] offset:22400
	ds_read_b128 v[4:7], v226 offset:9856
	ds_read_b128 v[15:18], v10 offset:21504
	s_waitcnt lgkmcnt(0)
	v_add_f64 v[8:9], v[4:5], -v[15:16]
	v_add_f64 v[19:20], v[6:7], v[17:18]
	v_add_f64 v[6:7], v[6:7], -v[17:18]
	v_add_f64 v[4:5], v[4:5], v[15:16]
	v_mul_f64 v[8:9], v[8:9], 0.5
	v_mul_f64 v[17:18], v[19:20], 0.5
	;; [unrolled: 1-line block ×3, first 2 shown]
	v_lshlrev_b64 v[19:20], 4, v[163:164]
	v_mov_b32_e32 v163, v151
	s_waitcnt vmcnt(1)
	v_mul_f64 v[15:16], v[8:9], v[13:14]
	v_fma_f64 v[21:22], v[17:18], v[13:14], v[6:7]
	v_fma_f64 v[13:14], v[17:18], v[13:14], -v[6:7]
	v_fma_f64 v[23:24], v[4:5], 0.5, v[15:16]
	v_fma_f64 v[25:26], v[4:5], 0.5, -v[15:16]
	v_add_co_u32_e64 v4, s[2:3], s8, v19
	v_addc_co_u32_e64 v5, s[2:3], v27, v20, s[2:3]
	global_load_dwordx4 v[4:7], v[4:5], off
	v_fma_f64 v[15:16], -v[11:12], v[8:9], v[21:22]
	v_fma_f64 v[19:20], -v[11:12], v[8:9], v[13:14]
	v_fma_f64 v[13:14], v[17:18], v[11:12], v[23:24]
	v_fma_f64 v[17:18], -v[17:18], v[11:12], v[25:26]
	ds_write_b128 v226, v[13:16] offset:9856
	ds_write_b128 v10, v[17:20] offset:21504
	ds_read_b128 v[11:14], v226 offset:10752
	ds_read_b128 v[15:18], v10 offset:20608
	s_waitcnt lgkmcnt(0)
	v_add_f64 v[8:9], v[11:12], -v[15:16]
	v_add_f64 v[19:20], v[13:14], v[17:18]
	v_add_f64 v[13:14], v[13:14], -v[17:18]
	v_add_f64 v[11:12], v[11:12], v[15:16]
	v_lshlrev_b64 v[17:18], 4, v[162:163]
	v_mov_b32_e32 v162, v151
	v_mul_f64 v[8:9], v[8:9], 0.5
	v_mul_f64 v[19:20], v[19:20], 0.5
	;; [unrolled: 1-line block ×3, first 2 shown]
	s_waitcnt vmcnt(1)
	v_mul_f64 v[15:16], v[8:9], v[2:3]
	v_fma_f64 v[21:22], v[19:20], v[2:3], v[13:14]
	v_fma_f64 v[2:3], v[19:20], v[2:3], -v[13:14]
	v_fma_f64 v[23:24], v[11:12], 0.5, v[15:16]
	v_fma_f64 v[25:26], v[11:12], 0.5, -v[15:16]
	v_add_co_u32_e64 v11, s[2:3], s8, v17
	v_addc_co_u32_e64 v12, s[2:3], v27, v18, s[2:3]
	global_load_dwordx4 v[11:14], v[11:12], off
	v_fma_f64 v[17:18], -v[0:1], v[8:9], v[21:22]
	v_fma_f64 v[15:16], v[19:20], v[0:1], v[23:24]
	v_fma_f64 v[2:3], -v[0:1], v[8:9], v[2:3]
	v_fma_f64 v[0:1], -v[19:20], v[0:1], v[25:26]
	ds_write_b128 v226, v[15:18] offset:10752
	ds_write_b128 v10, v[0:3] offset:20608
	ds_read_b128 v[0:3], v226 offset:11648
	ds_read_b128 v[15:18], v10 offset:19712
	s_waitcnt lgkmcnt(0)
	v_add_f64 v[8:9], v[0:1], -v[15:16]
	v_add_f64 v[19:20], v[2:3], v[17:18]
	v_add_f64 v[2:3], v[2:3], -v[17:18]
	v_add_f64 v[0:1], v[0:1], v[15:16]
	v_lshlrev_b64 v[15:16], 4, v[161:162]
	v_mov_b32_e32 v161, v151
	v_mul_f64 v[17:18], v[8:9], 0.5
	v_mul_f64 v[19:20], v[19:20], 0.5
	;; [unrolled: 1-line block ×3, first 2 shown]
	s_waitcnt vmcnt(1)
	v_mul_f64 v[8:9], v[17:18], v[6:7]
	v_fma_f64 v[21:22], v[19:20], v[6:7], v[2:3]
	v_fma_f64 v[6:7], v[19:20], v[6:7], -v[2:3]
	v_fma_f64 v[23:24], v[0:1], 0.5, v[8:9]
	v_fma_f64 v[25:26], v[0:1], 0.5, -v[8:9]
	v_add_co_u32_e64 v0, s[2:3], s8, v15
	v_addc_co_u32_e64 v1, s[2:3], v27, v16, s[2:3]
	global_load_dwordx4 v[0:3], v[0:1], off
	v_fma_f64 v[8:9], -v[4:5], v[17:18], v[21:22]
	v_fma_f64 v[17:18], -v[4:5], v[17:18], v[6:7]
	v_fma_f64 v[6:7], v[19:20], v[4:5], v[23:24]
	v_fma_f64 v[15:16], -v[19:20], v[4:5], v[25:26]
	ds_write_b128 v226, v[6:9] offset:11648
	ds_write_b128 v10, v[15:18] offset:19712
	ds_read_b128 v[4:7], v226 offset:12544
	ds_read_b128 v[15:18], v10 offset:18816
	s_waitcnt lgkmcnt(0)
	v_add_f64 v[8:9], v[4:5], -v[15:16]
	v_add_f64 v[19:20], v[6:7], v[17:18]
	v_add_f64 v[6:7], v[6:7], -v[17:18]
	v_add_f64 v[4:5], v[4:5], v[15:16]
	v_mul_f64 v[8:9], v[8:9], 0.5
	v_mul_f64 v[17:18], v[19:20], 0.5
	v_mul_f64 v[6:7], v[6:7], 0.5
	v_lshlrev_b64 v[19:20], 4, v[160:161]
	s_waitcnt vmcnt(1)
	v_mul_f64 v[15:16], v[8:9], v[13:14]
	v_fma_f64 v[21:22], v[17:18], v[13:14], v[6:7]
	v_fma_f64 v[13:14], v[17:18], v[13:14], -v[6:7]
	v_fma_f64 v[23:24], v[4:5], 0.5, v[15:16]
	v_fma_f64 v[25:26], v[4:5], 0.5, -v[15:16]
	v_add_co_u32_e64 v4, s[2:3], s8, v19
	v_addc_co_u32_e64 v5, s[2:3], v27, v20, s[2:3]
	global_load_dwordx4 v[4:7], v[4:5], off
	v_fma_f64 v[15:16], -v[11:12], v[8:9], v[21:22]
	v_fma_f64 v[19:20], -v[11:12], v[8:9], v[13:14]
	v_fma_f64 v[13:14], v[17:18], v[11:12], v[23:24]
	v_fma_f64 v[17:18], -v[17:18], v[11:12], v[25:26]
	ds_write_b128 v226, v[13:16] offset:12544
	ds_write_b128 v10, v[17:20] offset:18816
	ds_read_b128 v[11:14], v226 offset:13440
	ds_read_b128 v[15:18], v10 offset:17920
	s_waitcnt lgkmcnt(0)
	v_add_f64 v[8:9], v[11:12], -v[15:16]
	v_add_f64 v[19:20], v[13:14], v[17:18]
	v_add_f64 v[13:14], v[13:14], -v[17:18]
	v_add_f64 v[11:12], v[11:12], v[15:16]
	v_mul_f64 v[8:9], v[8:9], 0.5
	v_mul_f64 v[17:18], v[19:20], 0.5
	v_mul_f64 v[13:14], v[13:14], 0.5
	s_waitcnt vmcnt(1)
	v_mul_f64 v[15:16], v[8:9], v[2:3]
	v_fma_f64 v[19:20], v[17:18], v[2:3], v[13:14]
	v_fma_f64 v[2:3], v[17:18], v[2:3], -v[13:14]
	v_fma_f64 v[21:22], v[11:12], 0.5, v[15:16]
	v_fma_f64 v[15:16], v[11:12], 0.5, -v[15:16]
	v_fma_f64 v[13:14], -v[0:1], v[8:9], v[19:20]
	v_fma_f64 v[2:3], -v[0:1], v[8:9], v[2:3]
	v_fma_f64 v[11:12], v[17:18], v[0:1], v[21:22]
	v_fma_f64 v[0:1], -v[17:18], v[0:1], v[15:16]
	ds_write_b128 v226, v[11:14] offset:13440
	ds_write_b128 v10, v[0:3] offset:17920
	ds_read_b128 v[0:3], v226 offset:14336
	ds_read_b128 v[11:14], v10 offset:17024
	s_waitcnt lgkmcnt(0)
	v_add_f64 v[8:9], v[0:1], -v[11:12]
	v_add_f64 v[15:16], v[2:3], v[13:14]
	v_add_f64 v[2:3], v[2:3], -v[13:14]
	v_add_f64 v[0:1], v[0:1], v[11:12]
	v_mul_f64 v[8:9], v[8:9], 0.5
	v_mul_f64 v[13:14], v[15:16], 0.5
	;; [unrolled: 1-line block ×3, first 2 shown]
	s_waitcnt vmcnt(0)
	v_mul_f64 v[11:12], v[8:9], v[6:7]
	v_fma_f64 v[15:16], v[13:14], v[6:7], v[2:3]
	v_fma_f64 v[6:7], v[13:14], v[6:7], -v[2:3]
	v_fma_f64 v[17:18], v[0:1], 0.5, v[11:12]
	v_fma_f64 v[11:12], v[0:1], 0.5, -v[11:12]
	v_fma_f64 v[2:3], -v[4:5], v[8:9], v[15:16]
	v_fma_f64 v[6:7], -v[4:5], v[8:9], v[6:7]
	v_fma_f64 v[0:1], v[13:14], v[4:5], v[17:18]
	v_fma_f64 v[4:5], -v[13:14], v[4:5], v[11:12]
	ds_write_b128 v226, v[0:3] offset:14336
	ds_write_b128 v10, v[4:7] offset:17024
	s_and_saveexec_b64 s[2:3], vcc
	s_cbranch_execz .LBB0_25
; %bb.24:
	v_mov_b32_e32 v129, v151
	v_lshlrev_b64 v[0:1], 4, v[128:129]
	v_mov_b32_e32 v2, s9
	v_add_co_u32_e32 v0, vcc, s8, v0
	v_addc_co_u32_e32 v1, vcc, v2, v1, vcc
	global_load_dwordx4 v[0:3], v[0:1], off
	ds_read_b128 v[4:7], v226 offset:15232
	ds_read_b128 v[11:14], v10 offset:16128
	s_waitcnt lgkmcnt(0)
	v_add_f64 v[8:9], v[4:5], -v[11:12]
	v_add_f64 v[15:16], v[6:7], v[13:14]
	v_add_f64 v[6:7], v[6:7], -v[13:14]
	v_add_f64 v[4:5], v[4:5], v[11:12]
	v_mul_f64 v[8:9], v[8:9], 0.5
	v_mul_f64 v[13:14], v[15:16], 0.5
	;; [unrolled: 1-line block ×3, first 2 shown]
	s_waitcnt vmcnt(0)
	v_mul_f64 v[11:12], v[8:9], v[2:3]
	v_fma_f64 v[15:16], v[13:14], v[2:3], v[6:7]
	v_fma_f64 v[2:3], v[13:14], v[2:3], -v[6:7]
	v_fma_f64 v[6:7], v[4:5], 0.5, v[11:12]
	v_fma_f64 v[11:12], v[4:5], 0.5, -v[11:12]
	v_fma_f64 v[4:5], -v[0:1], v[8:9], v[15:16]
	v_fma_f64 v[8:9], -v[0:1], v[8:9], v[2:3]
	v_fma_f64 v[2:3], v[13:14], v[0:1], v[6:7]
	v_fma_f64 v[6:7], -v[13:14], v[0:1], v[11:12]
	ds_write_b128 v226, v[2:5] offset:15232
	ds_write_b128 v10, v[6:9] offset:16128
.LBB0_25:
	s_or_b64 exec, exec, s[2:3]
	s_waitcnt lgkmcnt(0)
	; wave barrier
	s_waitcnt lgkmcnt(0)
	s_and_saveexec_b64 s[2:3], s[0:1]
	s_cbranch_execz .LBB0_28
; %bb.26:
	v_mul_lo_u32 v2, s5, v148
	v_mul_lo_u32 v3, s4, v149
	v_mad_u64_u32 v[0:1], s[0:1], s4, v148, 0
	v_mov_b32_e32 v6, s11
	v_lshl_add_u32 v12, v144, 4, 0
	v_add3_u32 v1, v1, v3, v2
	v_lshlrev_b64 v[0:1], 4, v[0:1]
	v_mov_b32_e32 v145, 0
	v_add_co_u32_e32 v0, vcc, s10, v0
	v_addc_co_u32_e32 v8, vcc, v6, v1, vcc
	v_lshlrev_b64 v[6:7], 4, v[146:147]
	ds_read_b128 v[2:5], v12
	v_add_co_u32_e32 v1, vcc, v0, v6
	v_addc_co_u32_e32 v0, vcc, v8, v7, vcc
	v_lshlrev_b64 v[6:7], 4, v[144:145]
	v_add_co_u32_e32 v10, vcc, v1, v6
	v_addc_co_u32_e32 v11, vcc, v0, v7, vcc
	ds_read_b128 v[6:9], v12 offset:896
	s_waitcnt lgkmcnt(1)
	global_store_dwordx4 v[10:11], v[2:5], off
	s_nop 0
	v_add_u32_e32 v2, 56, v144
	v_mov_b32_e32 v3, v145
	v_lshlrev_b64 v[2:3], 4, v[2:3]
	v_add_co_u32_e32 v2, vcc, v1, v2
	v_addc_co_u32_e32 v3, vcc, v0, v3, vcc
	s_waitcnt lgkmcnt(0)
	global_store_dwordx4 v[2:3], v[6:9], off
	ds_read_b128 v[2:5], v12 offset:1792
	v_add_u32_e32 v6, 0x70, v144
	v_mov_b32_e32 v7, v145
	v_lshlrev_b64 v[6:7], 4, v[6:7]
	v_add_co_u32_e32 v10, vcc, v1, v6
	v_addc_co_u32_e32 v11, vcc, v0, v7, vcc
	ds_read_b128 v[6:9], v12 offset:2688
	s_waitcnt lgkmcnt(1)
	global_store_dwordx4 v[10:11], v[2:5], off
	s_nop 0
	v_add_u32_e32 v2, 0xa8, v144
	v_mov_b32_e32 v3, v145
	v_lshlrev_b64 v[2:3], 4, v[2:3]
	v_add_co_u32_e32 v2, vcc, v1, v2
	v_addc_co_u32_e32 v3, vcc, v0, v3, vcc
	s_waitcnt lgkmcnt(0)
	global_store_dwordx4 v[2:3], v[6:9], off
	ds_read_b128 v[2:5], v12 offset:3584
	v_add_u32_e32 v6, 0xe0, v144
	v_mov_b32_e32 v7, v145
	;; [unrolled: 17-line block ×17, first 2 shown]
	v_lshlrev_b64 v[6:7], 4, v[6:7]
	v_add_co_u32_e32 v6, vcc, v1, v6
	v_addc_co_u32_e32 v7, vcc, v0, v7, vcc
	v_cmp_eq_u32_e32 vcc, 55, v144
	s_waitcnt lgkmcnt(0)
	global_store_dwordx4 v[6:7], v[2:5], off
	s_and_b64 exec, exec, vcc
	s_cbranch_execz .LBB0_28
; %bb.27:
	ds_read_b128 v[2:5], v145 offset:31360
	v_add_co_u32_e32 v6, vcc, 0x7000, v1
	v_addc_co_u32_e32 v7, vcc, 0, v0, vcc
	s_waitcnt lgkmcnt(0)
	global_store_dwordx4 v[6:7], v[2:5], off offset:2688
.LBB0_28:
	s_endpgm
	.section	.rodata,"a",@progbits
	.p2align	6, 0x0
	.amdhsa_kernel fft_rtc_back_len1960_factors_4_7_2_7_5_wgs_56_tpt_56_halfLds_dp_op_CI_CI_unitstride_sbrr_R2C_dirReg
		.amdhsa_group_segment_fixed_size 0
		.amdhsa_private_segment_fixed_size 0
		.amdhsa_kernarg_size 104
		.amdhsa_user_sgpr_count 6
		.amdhsa_user_sgpr_private_segment_buffer 1
		.amdhsa_user_sgpr_dispatch_ptr 0
		.amdhsa_user_sgpr_queue_ptr 0
		.amdhsa_user_sgpr_kernarg_segment_ptr 1
		.amdhsa_user_sgpr_dispatch_id 0
		.amdhsa_user_sgpr_flat_scratch_init 0
		.amdhsa_user_sgpr_private_segment_size 0
		.amdhsa_uses_dynamic_stack 0
		.amdhsa_system_sgpr_private_segment_wavefront_offset 0
		.amdhsa_system_sgpr_workgroup_id_x 1
		.amdhsa_system_sgpr_workgroup_id_y 0
		.amdhsa_system_sgpr_workgroup_id_z 0
		.amdhsa_system_sgpr_workgroup_info 0
		.amdhsa_system_vgpr_workitem_id 0
		.amdhsa_next_free_vgpr 256
		.amdhsa_next_free_sgpr 28
		.amdhsa_reserve_vcc 1
		.amdhsa_reserve_flat_scratch 0
		.amdhsa_float_round_mode_32 0
		.amdhsa_float_round_mode_16_64 0
		.amdhsa_float_denorm_mode_32 3
		.amdhsa_float_denorm_mode_16_64 3
		.amdhsa_dx10_clamp 1
		.amdhsa_ieee_mode 1
		.amdhsa_fp16_overflow 0
		.amdhsa_exception_fp_ieee_invalid_op 0
		.amdhsa_exception_fp_denorm_src 0
		.amdhsa_exception_fp_ieee_div_zero 0
		.amdhsa_exception_fp_ieee_overflow 0
		.amdhsa_exception_fp_ieee_underflow 0
		.amdhsa_exception_fp_ieee_inexact 0
		.amdhsa_exception_int_div_zero 0
	.end_amdhsa_kernel
	.text
.Lfunc_end0:
	.size	fft_rtc_back_len1960_factors_4_7_2_7_5_wgs_56_tpt_56_halfLds_dp_op_CI_CI_unitstride_sbrr_R2C_dirReg, .Lfunc_end0-fft_rtc_back_len1960_factors_4_7_2_7_5_wgs_56_tpt_56_halfLds_dp_op_CI_CI_unitstride_sbrr_R2C_dirReg
                                        ; -- End function
	.section	.AMDGPU.csdata,"",@progbits
; Kernel info:
; codeLenInByte = 28608
; NumSgprs: 32
; NumVgprs: 256
; ScratchSize: 0
; MemoryBound: 0
; FloatMode: 240
; IeeeMode: 1
; LDSByteSize: 0 bytes/workgroup (compile time only)
; SGPRBlocks: 3
; VGPRBlocks: 63
; NumSGPRsForWavesPerEU: 32
; NumVGPRsForWavesPerEU: 256
; Occupancy: 1
; WaveLimiterHint : 1
; COMPUTE_PGM_RSRC2:SCRATCH_EN: 0
; COMPUTE_PGM_RSRC2:USER_SGPR: 6
; COMPUTE_PGM_RSRC2:TRAP_HANDLER: 0
; COMPUTE_PGM_RSRC2:TGID_X_EN: 1
; COMPUTE_PGM_RSRC2:TGID_Y_EN: 0
; COMPUTE_PGM_RSRC2:TGID_Z_EN: 0
; COMPUTE_PGM_RSRC2:TIDIG_COMP_CNT: 0
	.type	__hip_cuid_cb74aabe5dcf60e1,@object ; @__hip_cuid_cb74aabe5dcf60e1
	.section	.bss,"aw",@nobits
	.globl	__hip_cuid_cb74aabe5dcf60e1
__hip_cuid_cb74aabe5dcf60e1:
	.byte	0                               ; 0x0
	.size	__hip_cuid_cb74aabe5dcf60e1, 1

	.ident	"AMD clang version 19.0.0git (https://github.com/RadeonOpenCompute/llvm-project roc-6.4.0 25133 c7fe45cf4b819c5991fe208aaa96edf142730f1d)"
	.section	".note.GNU-stack","",@progbits
	.addrsig
	.addrsig_sym __hip_cuid_cb74aabe5dcf60e1
	.amdgpu_metadata
---
amdhsa.kernels:
  - .args:
      - .actual_access:  read_only
        .address_space:  global
        .offset:         0
        .size:           8
        .value_kind:     global_buffer
      - .offset:         8
        .size:           8
        .value_kind:     by_value
      - .actual_access:  read_only
        .address_space:  global
        .offset:         16
        .size:           8
        .value_kind:     global_buffer
      - .actual_access:  read_only
        .address_space:  global
        .offset:         24
        .size:           8
        .value_kind:     global_buffer
      - .actual_access:  read_only
        .address_space:  global
        .offset:         32
        .size:           8
        .value_kind:     global_buffer
      - .offset:         40
        .size:           8
        .value_kind:     by_value
      - .actual_access:  read_only
        .address_space:  global
        .offset:         48
        .size:           8
        .value_kind:     global_buffer
      - .actual_access:  read_only
        .address_space:  global
        .offset:         56
        .size:           8
        .value_kind:     global_buffer
      - .offset:         64
        .size:           4
        .value_kind:     by_value
      - .actual_access:  read_only
        .address_space:  global
        .offset:         72
        .size:           8
        .value_kind:     global_buffer
      - .actual_access:  read_only
        .address_space:  global
        .offset:         80
        .size:           8
        .value_kind:     global_buffer
      - .actual_access:  read_only
        .address_space:  global
        .offset:         88
        .size:           8
        .value_kind:     global_buffer
      - .actual_access:  write_only
        .address_space:  global
        .offset:         96
        .size:           8
        .value_kind:     global_buffer
    .group_segment_fixed_size: 0
    .kernarg_segment_align: 8
    .kernarg_segment_size: 104
    .language:       OpenCL C
    .language_version:
      - 2
      - 0
    .max_flat_workgroup_size: 56
    .name:           fft_rtc_back_len1960_factors_4_7_2_7_5_wgs_56_tpt_56_halfLds_dp_op_CI_CI_unitstride_sbrr_R2C_dirReg
    .private_segment_fixed_size: 0
    .sgpr_count:     32
    .sgpr_spill_count: 0
    .symbol:         fft_rtc_back_len1960_factors_4_7_2_7_5_wgs_56_tpt_56_halfLds_dp_op_CI_CI_unitstride_sbrr_R2C_dirReg.kd
    .uniform_work_group_size: 1
    .uses_dynamic_stack: false
    .vgpr_count:     256
    .vgpr_spill_count: 0
    .wavefront_size: 64
amdhsa.target:   amdgcn-amd-amdhsa--gfx906
amdhsa.version:
  - 1
  - 2
...

	.end_amdgpu_metadata
